;; amdgpu-corpus repo=ROCm/rocFFT kind=compiled arch=gfx950 opt=O3
	.text
	.amdgcn_target "amdgcn-amd-amdhsa--gfx950"
	.amdhsa_code_object_version 6
	.protected	bluestein_single_back_len952_dim1_sp_op_CI_CI ; -- Begin function bluestein_single_back_len952_dim1_sp_op_CI_CI
	.globl	bluestein_single_back_len952_dim1_sp_op_CI_CI
	.p2align	8
	.type	bluestein_single_back_len952_dim1_sp_op_CI_CI,@function
bluestein_single_back_len952_dim1_sp_op_CI_CI: ; @bluestein_single_back_len952_dim1_sp_op_CI_CI
; %bb.0:
	s_load_dwordx4 s[8:11], s[0:1], 0x28
	v_mul_u32_u24_e32 v1, 0x3c4, v0
	v_lshrrev_b32_e32 v2, 16, v1
	v_mad_u64_u32 v[4:5], s[2:3], s2, 3, v[2:3]
	v_mov_b32_e32 v5, 0
	s_waitcnt lgkmcnt(0)
	v_cmp_gt_u64_e32 vcc, s[8:9], v[4:5]
	s_and_saveexec_b64 s[2:3], vcc
	s_cbranch_execz .LBB0_23
; %bb.1:
	v_mul_lo_u16_e32 v1, 0x44, v2
	s_mov_b32 s2, 0xaaaaaaab
	v_sub_u16_e32 v2, v0, v1
	v_mul_hi_u32 v0, v4, s2
	v_lshrrev_b32_e32 v0, 1, v0
	s_load_dwordx2 s[8:9], s[0:1], 0x0
	s_load_dwordx2 s[12:13], s[0:1], 0x38
	v_lshl_add_u32 v0, v0, 1, v0
	v_sub_u32_e32 v0, v4, v0
	v_mul_u32_u24_e32 v238, 0x3b8, v0
	v_lshlrev_b32_e32 v0, 3, v238
	v_accvgpr_write_b32 a2, v4
	v_cmp_gt_u16_e32 vcc, 56, v2
	v_accvgpr_write_b32 a0, v2
	v_lshlrev_b32_e32 v74, 3, v2
	v_accvgpr_write_b32 a1, v0
	s_and_saveexec_b64 s[14:15], vcc
	s_cbranch_execz .LBB0_3
; %bb.2:
	s_load_dwordx2 s[2:3], s[0:1], 0x18
	v_accvgpr_read_b32 v10, a2
	v_accvgpr_read_b32 v80, a0
	v_mov_b32_e32 v0, s10
	v_mov_b32_e32 v1, s11
	s_waitcnt lgkmcnt(0)
	s_load_dwordx4 s[4:7], s[2:3], 0x0
	v_mov_b32_e32 v65, 0x1c0
	v_mov_b32_e32 v75, 0
	v_or_b32_e32 v78, 0x380, v80
	v_lshl_add_u64 v[28:29], s[8:9], 0, v[74:75]
	s_waitcnt lgkmcnt(0)
	v_mad_u64_u32 v[2:3], s[2:3], s6, v10, 0
	v_mad_u64_u32 v[4:5], s[2:3], s4, v80, 0
	v_mov_b32_e32 v6, v3
	v_mov_b32_e32 v8, v5
	v_mad_u64_u32 v[6:7], s[2:3], s7, v10, v[6:7]
	v_mov_b32_e32 v3, v6
	v_mad_u64_u32 v[6:7], s[2:3], s5, v80, v[8:9]
	v_mov_b32_e32 v5, v6
	v_lshl_add_u64 v[2:3], v[2:3], 3, v[0:1]
	v_lshl_add_u64 v[4:5], v[4:5], 3, v[2:3]
	v_mad_u64_u32 v[18:19], s[2:3], s4, v65, v[4:5]
	s_mul_i32 s6, s5, 0x1c0
	v_add_u32_e32 v19, s6, v19
	v_mad_u64_u32 v[20:21], s[2:3], s4, v65, v[18:19]
	s_movk_i32 s2, 0x1000
	v_add_u32_e32 v21, s6, v21
	v_lshlrev_b32_e32 v34, 3, v78
	v_add_co_u32_e64 v28, s[2:3], s2, v28
	global_load_dwordx2 v[0:1], v[4:5], off
	global_load_dwordx2 v[8:9], v74, s[8:9]
	s_nop 0
	global_load_dwordx2 v[4:5], v74, s[8:9] offset:448
	global_load_dwordx2 v[6:7], v74, s[8:9] offset:896
	;; [unrolled: 1-line block ×9, first 2 shown]
	v_addc_co_u32_e64 v29, s[2:3], 0, v29, s[2:3]
	global_load_dwordx2 v[30:31], v34, s[8:9]
	global_load_dwordx2 v[32:33], v[18:19], off
	v_or_b32_e32 v37, 0x1c0, v80
	global_load_dwordx2 v[34:35], v[20:21], off
	v_mad_u64_u32 v[20:21], s[2:3], s4, v65, v[20:21]
	v_add_u32_e32 v21, s6, v21
	global_load_dwordx2 v[38:39], v[20:21], off
	v_mad_u64_u32 v[20:21], s[2:3], s4, v65, v[20:21]
	v_add_u32_e32 v21, s6, v21
	global_load_dwordx2 v[40:41], v[20:21], off
	v_mad_u64_u32 v[20:21], s[2:3], s4, v65, v[20:21]
	v_mad_u64_u32 v[18:19], s[2:3], s4, v37, 0
	v_add_u32_e32 v21, s6, v21
	v_mov_b32_e32 v36, v19
	global_load_dwordx2 v[42:43], v[20:21], off
	v_mad_u64_u32 v[20:21], s[2:3], s4, v65, v[20:21]
	v_mad_u64_u32 v[36:37], s[2:3], s5, v37, v[36:37]
	v_add_u32_e32 v21, s6, v21
	global_load_dwordx2 v[44:45], v[20:21], off
	v_mov_b32_e32 v19, v36
	v_mad_u64_u32 v[20:21], s[2:3], s4, v65, v[20:21]
	v_mov_b32_e32 v48, 0x380
	v_lshl_add_u64 v[18:19], v[18:19], 3, v[2:3]
	v_add_u32_e32 v21, s6, v21
	s_mul_i32 s7, s5, 0x380
	global_load_dwordx2 v[36:37], v[20:21], off
	global_load_dwordx2 v[46:47], v[18:19], off
	v_mad_u64_u32 v[18:19], s[2:3], s4, v48, v[20:21]
	v_add_u32_e32 v19, s7, v19
	global_load_dwordx2 v[20:21], v[18:19], off
	v_mad_u64_u32 v[18:19], s[2:3], s4, v65, v[18:19]
	v_add_u32_e32 v19, s6, v19
	;; [unrolled: 3-line block ×3, first 2 shown]
	global_load_dwordx2 v[50:51], v[28:29], off offset:384
	global_load_dwordx2 v[52:53], v[18:19], off
	v_mad_u64_u32 v[18:19], s[2:3], s4, v65, v[18:19]
	v_add_u32_e32 v19, s6, v19
	global_load_dwordx2 v[54:55], v[18:19], off
	global_load_dwordx2 v[56:57], v[28:29], off offset:832
	v_mad_u64_u32 v[18:19], s[2:3], s4, v65, v[18:19]
	v_add_u32_e32 v19, s6, v19
	global_load_dwordx2 v[58:59], v[28:29], off offset:1280
	global_load_dwordx2 v[60:61], v[18:19], off
	v_mad_u64_u32 v[18:19], s[2:3], s4, v65, v[18:19]
	v_add_u32_e32 v19, s6, v19
	v_mad_u64_u32 v[62:63], s[2:3], s4, v78, 0
	global_load_dwordx2 v[66:67], v[28:29], off offset:1728
	global_load_dwordx2 v[68:69], v[18:19], off
	global_load_dwordx2 v[70:71], v[28:29], off offset:2176
	v_mad_u64_u32 v[18:19], s[2:3], s4, v65, v[18:19]
	v_mov_b32_e32 v64, v63
	v_add_u32_e32 v19, s6, v19
	global_load_dwordx2 v[72:73], v[18:19], off
	global_load_dwordx2 v[76:77], v[28:29], off offset:2624
	v_mad_u64_u32 v[18:19], s[2:3], s5, v78, v[64:65]
	v_mov_b32_e32 v63, v18
	v_lshl_add_u64 v[2:3], v[62:63], 3, v[2:3]
	global_load_dwordx2 v[2:3], v[2:3], off
	v_accvgpr_read_b32 v29, a1
	v_lshl_add_u32 v28, v80, 3, v29
	s_waitcnt vmcnt(32)
	v_mul_f32_e32 v18, v1, v9
	v_mul_f32_e32 v9, v0, v9
	v_fmac_f32_e32 v18, v0, v8
	v_fma_f32 v19, v1, v8, -v9
	ds_write_b64 v28, v[18:19]
	s_waitcnt vmcnt(21)
	v_mul_f32_e32 v0, v33, v5
	v_mul_f32_e32 v1, v32, v5
	v_fmac_f32_e32 v0, v32, v4
	v_fma_f32 v1, v33, v4, -v1
	s_waitcnt vmcnt(20)
	v_mul_f32_e32 v4, v35, v7
	v_mul_f32_e32 v5, v34, v7
	v_fmac_f32_e32 v4, v34, v6
	v_fma_f32 v5, v35, v6, -v5
	v_add_u32_e32 v6, v29, v74
	ds_write2_b64 v6, v[0:1], v[4:5] offset0:56 offset1:112
	s_waitcnt vmcnt(19)
	v_mul_f32_e32 v0, v39, v11
	v_mul_f32_e32 v1, v38, v11
	s_waitcnt vmcnt(18)
	v_mul_f32_e32 v4, v41, v13
	v_mul_f32_e32 v5, v40, v13
	v_fmac_f32_e32 v0, v38, v10
	v_fma_f32 v1, v39, v10, -v1
	v_fmac_f32_e32 v4, v40, v12
	v_fma_f32 v5, v41, v12, -v5
	ds_write2_b64 v6, v[0:1], v[4:5] offset0:168 offset1:224
	s_waitcnt vmcnt(17)
	v_mul_f32_e32 v0, v43, v15
	v_mul_f32_e32 v1, v42, v15
	v_fmac_f32_e32 v0, v42, v14
	v_fma_f32 v1, v43, v14, -v1
	s_waitcnt vmcnt(16)
	v_mul_f32_e32 v4, v45, v17
	v_mul_f32_e32 v5, v44, v17
	v_fmac_f32_e32 v4, v44, v16
	v_fma_f32 v5, v45, v16, -v5
	v_add_u32_e32 v7, 0x800, v6
	ds_write2_b64 v7, v[0:1], v[4:5] offset0:24 offset1:80
	s_waitcnt vmcnt(15)
	v_mul_f32_e32 v0, v37, v23
	v_mul_f32_e32 v1, v36, v23
	s_waitcnt vmcnt(14)
	v_mul_f32_e32 v4, v47, v25
	v_mul_f32_e32 v5, v46, v25
	v_fmac_f32_e32 v0, v36, v22
	v_fma_f32 v1, v37, v22, -v1
	v_fmac_f32_e32 v4, v46, v24
	v_fma_f32 v5, v47, v24, -v5
	ds_write2_b64 v7, v[0:1], v[4:5] offset0:136 offset1:192
	s_waitcnt vmcnt(13)
	v_mul_f32_e32 v0, v21, v27
	v_mul_f32_e32 v1, v20, v27
	v_fmac_f32_e32 v0, v20, v26
	s_waitcnt vmcnt(11)
	v_mul_f32_e32 v4, v49, v51
	v_mul_f32_e32 v5, v48, v51
	v_fma_f32 v1, v21, v26, -v1
	v_fmac_f32_e32 v4, v48, v50
	v_fma_f32 v5, v49, v50, -v5
	v_add_u32_e32 v7, 0xc00, v6
	ds_write2_b64 v7, v[0:1], v[4:5] offset0:120 offset1:176
	s_waitcnt vmcnt(8)
	v_mul_f32_e32 v0, v53, v57
	v_mul_f32_e32 v1, v52, v57
	s_waitcnt vmcnt(7)
	v_mul_f32_e32 v4, v55, v59
	v_mul_f32_e32 v5, v54, v59
	v_fmac_f32_e32 v0, v52, v56
	v_fma_f32 v1, v53, v56, -v1
	v_fmac_f32_e32 v4, v54, v58
	v_fma_f32 v5, v55, v58, -v5
	v_add_u32_e32 v7, 0x1000, v6
	ds_write2_b64 v7, v[0:1], v[4:5] offset0:104 offset1:160
	s_waitcnt vmcnt(5)
	v_mul_f32_e32 v0, v61, v67
	v_mul_f32_e32 v1, v60, v67
	s_waitcnt vmcnt(3)
	v_mul_f32_e32 v4, v69, v71
	v_mul_f32_e32 v5, v68, v71
	v_fmac_f32_e32 v0, v60, v66
	v_fma_f32 v1, v61, v66, -v1
	v_fmac_f32_e32 v4, v68, v70
	v_fma_f32 v5, v69, v70, -v5
	v_add_u32_e32 v7, 0x1400, v6
	ds_write2_b64 v7, v[0:1], v[4:5] offset0:88 offset1:144
	s_waitcnt vmcnt(0)
	v_mul_f32_e32 v4, v3, v31
	v_mul_f32_e32 v0, v73, v77
	;; [unrolled: 1-line block ×3, first 2 shown]
	v_fmac_f32_e32 v4, v2, v30
	v_mul_f32_e32 v2, v2, v31
	v_fmac_f32_e32 v0, v72, v76
	v_fma_f32 v1, v73, v76, -v1
	v_fma_f32 v5, v3, v30, -v2
	v_add_u32_e32 v2, 0x1800, v6
	ds_write2_b64 v2, v[0:1], v[4:5] offset0:72 offset1:128
.LBB0_3:
	s_or_b64 exec, exec, s[14:15]
	v_mov_b32_e32 v0, 0
	v_mov_b32_e32 v1, 0
	s_waitcnt lgkmcnt(0)
	s_barrier
	s_waitcnt lgkmcnt(0)
                                        ; implicit-def: $vgpr6
                                        ; implicit-def: $vgpr20
                                        ; implicit-def: $vgpr14
                                        ; implicit-def: $vgpr32
                                        ; implicit-def: $vgpr30
                                        ; implicit-def: $vgpr42
                                        ; implicit-def: $vgpr36
                                        ; implicit-def: $vgpr58
	s_and_saveexec_b64 s[2:3], vcc
	s_cbranch_execz .LBB0_5
; %bb.4:
	v_lshl_add_u32 v8, v238, 3, v74
	v_add_u32_e32 v4, 0x400, v8
	ds_read2_b64 v[0:3], v8 offset1:56
	ds_read2_b64 v[36:39], v8 offset0:112 offset1:168
	ds_read2_b64 v[28:31], v4 offset0:96 offset1:152
	v_add_u32_e32 v4, 0x800, v8
	v_add_u32_e32 v9, 0x1000, v8
	ds_read2_b64 v[12:15], v4 offset0:80 offset1:136
	ds_read2_b64 v[4:7], v4 offset0:192 offset1:248
	;; [unrolled: 1-line block ×4, first 2 shown]
	v_add_u32_e32 v9, 0x1800, v8
	ds_read2_b64 v[40:43], v9 offset0:16 offset1:72
	ds_read_b64 v[58:59], v8 offset:7168
.LBB0_5:
	s_or_b64 exec, exec, s[2:3]
	s_waitcnt lgkmcnt(0)
	v_pk_add_f32 v[50:51], v[2:3], v[58:59] neg_lo:[0,1] neg_hi:[0,1]
	s_mov_b32 s24, 0xbf2c7751
	v_pk_add_f32 v[44:45], v[58:59], v[2:3]
	v_pk_add_f32 v[52:53], v[36:37], v[42:43] neg_lo:[0,1] neg_hi:[0,1]
	s_mov_b32 s4, 0x3f3d2fb0
	s_mov_b32 s20, 0xbf7ee86f
	v_pk_mul_f32 v[8:9], v[50:51], s[24:25] op_sel_hi:[1,0]
	v_pk_add_f32 v[48:49], v[42:43], v[36:37]
	v_pk_add_f32 v[54:55], v[38:39], v[40:41] neg_lo:[0,1] neg_hi:[0,1]
	s_mov_b32 s10, 0x3dbcf732
	s_mov_b32 s18, 0xbf4c4adb
	v_pk_fma_f32 v[80:81], v[44:45], s[4:5], v[8:9] op_sel:[0,0,1] op_sel_hi:[1,0,0]
	v_pk_fma_f32 v[78:79], v[44:45], s[4:5], v[8:9] op_sel:[0,0,1] op_sel_hi:[1,0,0] neg_lo:[0,0,1] neg_hi:[0,0,1]
	v_pk_mul_f32 v[10:11], v[52:53], s[20:21] op_sel_hi:[1,0]
	v_pk_add_f32 v[46:47], v[40:41], v[38:39]
	s_mov_b32 s16, 0xbf1a4643
	v_mov_b32_e32 v8, v80
	v_mov_b32_e32 v9, v79
	v_pk_fma_f32 v[84:85], v[48:49], s[10:11], v[10:11] op_sel:[0,0,1] op_sel_hi:[1,0,0]
	v_pk_fma_f32 v[82:83], v[48:49], s[10:11], v[10:11] op_sel:[0,0,1] op_sel_hi:[1,0,0] neg_lo:[0,0,1] neg_hi:[0,0,1]
	v_pk_mul_f32 v[16:17], v[54:55], s[18:19] op_sel_hi:[1,0]
	v_mov_b32_e32 v10, v84
	v_mov_b32_e32 v11, v83
	v_pk_fma_f32 v[86:87], v[46:47], s[16:17], v[16:17] op_sel:[0,0,1] op_sel_hi:[1,0,0]
	v_pk_fma_f32 v[88:89], v[46:47], s[16:17], v[16:17] op_sel:[0,0,1] op_sel_hi:[1,0,0] neg_lo:[0,0,1] neg_hi:[0,0,1]
	v_pk_add_f32 v[8:9], v[8:9], v[0:1]
	v_pk_add_f32 v[56:57], v[28:29], v[34:35] neg_lo:[0,1] neg_hi:[0,1]
	s_mov_b32 s14, 0xbe3c28d5
	v_pk_add_f32 v[8:9], v[10:11], v[8:9]
	v_mov_b32_e32 v10, v86
	v_mov_b32_e32 v11, v89
	v_pk_add_f32 v[24:25], v[34:35], v[28:29]
	s_mov_b32 s6, 0xbf7ba420
	v_pk_add_f32 v[8:9], v[10:11], v[8:9]
	v_pk_mul_f32 v[10:11], v[56:57], s[14:15] op_sel_hi:[1,0]
	s_mov_b32 s34, 0x3f06c442
	v_pk_fma_f32 v[90:91], v[24:25], s[6:7], v[10:11] op_sel:[0,0,1] op_sel_hi:[1,0,0]
	v_pk_fma_f32 v[92:93], v[24:25], s[6:7], v[10:11] op_sel:[0,0,1] op_sel_hi:[1,0,0] neg_lo:[0,0,1] neg_hi:[0,0,1]
	v_mov_b32_e32 v10, v90
	v_mov_b32_e32 v11, v93
	v_pk_add_f32 v[66:67], v[30:31], v[32:33] neg_lo:[0,1] neg_hi:[0,1]
	v_pk_add_f32 v[8:9], v[10:11], v[8:9]
	s_mov_b32 s26, 0xbf59a7d5
	v_pk_add_f32 v[60:61], v[32:33], v[30:31]
	v_pk_mul_f32 v[10:11], v[66:67], s[34:35] op_sel_hi:[1,0]
	s_mov_b32 s44, 0x3f763a35
	v_pk_fma_f32 v[94:95], v[60:61], s[26:27], v[10:11] op_sel:[0,0,1] op_sel_hi:[1,0,0]
	v_pk_fma_f32 v[96:97], v[60:61], s[26:27], v[10:11] op_sel:[0,0,1] op_sel_hi:[1,0,0] neg_lo:[0,0,1] neg_hi:[0,0,1]
	v_mov_b32_e32 v10, v94
	v_mov_b32_e32 v11, v97
	v_pk_add_f32 v[68:69], v[12:13], v[22:23] neg_lo:[0,1] neg_hi:[0,1]
	;; [unrolled: 10-line block ×3, first 2 shown]
	v_pk_add_f32 v[8:9], v[10:11], v[8:9]
	s_mov_b32 s28, 0x3ee437d1
	v_pk_add_f32 v[64:65], v[20:21], v[14:15]
	v_pk_mul_f32 v[10:11], v[114:115], s[30:31] op_sel:[1,0] op_sel_hi:[0,0]
	v_pk_fma_f32 v[106:107], v[64:65], s[28:29], v[10:11] op_sel_hi:[1,0,1]
	v_pk_fma_f32 v[108:109], v[64:65], s[28:29], v[10:11] op_sel_hi:[1,0,1] neg_lo:[0,0,1] neg_hi:[0,0,1]
	v_mov_b32_e32 v10, v106
	v_mov_b32_e32 v11, v109
	s_mov_b32 s2, 0xbf65296c
	v_pk_add_f32 v[8:9], v[10:11], v[8:9]
	v_pk_mul_f32 v[10:11], v[50:51], s[2:3] op_sel_hi:[1,0]
	v_pk_mul_f32 v[16:17], v[52:53], s[18:19] op_sel_hi:[1,0]
	v_pk_fma_f32 v[102:103], v[44:45], s[28:29], v[10:11] op_sel:[0,0,1] op_sel_hi:[1,0,0]
	v_pk_fma_f32 v[104:105], v[44:45], s[28:29], v[10:11] op_sel:[0,0,1] op_sel_hi:[1,0,0] neg_lo:[0,0,1] neg_hi:[0,0,1]
	v_mov_b32_e32 v10, v102
	v_mov_b32_e32 v11, v105
	v_pk_fma_f32 v[110:111], v[48:49], s[16:17], v[16:17] op_sel:[0,0,1] op_sel_hi:[1,0,0]
	v_pk_fma_f32 v[112:113], v[48:49], s[16:17], v[16:17] op_sel:[0,0,1] op_sel_hi:[1,0,0] neg_lo:[0,0,1] neg_hi:[0,0,1]
	v_mov_b32_e32 v16, v110
	v_mov_b32_e32 v17, v113
	v_pk_add_f32 v[10:11], v[10:11], v[0:1]
	s_mov_b32 s36, 0x3e3c28d5
	v_pk_add_f32 v[10:11], v[16:17], v[10:11]
	v_pk_mul_f32 v[16:17], v[54:55], s[36:37] op_sel_hi:[1,0]
	s_mov_b32 s38, 0x3f2c7751
	v_pk_fma_f32 v[116:117], v[46:47], s[6:7], v[16:17] op_sel:[0,0,1] op_sel_hi:[1,0,0]
	v_pk_fma_f32 v[118:119], v[46:47], s[6:7], v[16:17] op_sel:[0,0,1] op_sel_hi:[1,0,0] neg_lo:[0,0,1] neg_hi:[0,0,1]
	v_mov_b32_e32 v16, v116
	v_mov_b32_e32 v17, v119
	v_pk_add_f32 v[10:11], v[16:17], v[10:11]
	v_pk_mul_f32 v[16:17], v[56:57], s[44:45] op_sel_hi:[1,0]
	s_mov_b32 s46, 0xbeb8f4ab
	v_pk_fma_f32 v[120:121], v[24:25], s[22:23], v[16:17] op_sel:[0,0,1] op_sel_hi:[1,0,0]
	v_pk_fma_f32 v[122:123], v[24:25], s[22:23], v[16:17] op_sel:[0,0,1] op_sel_hi:[1,0,0] neg_lo:[0,0,1] neg_hi:[0,0,1]
	v_mov_b32_e32 v16, v120
	v_mov_b32_e32 v17, v123
	;; [unrolled: 7-line block ×4, first 2 shown]
	v_pk_add_f32 v[10:11], v[16:17], v[10:11]
	v_pk_mul_f32 v[16:17], v[114:115], s[20:21] op_sel:[1,0] op_sel_hi:[0,0]
	v_pk_fma_f32 v[132:133], v[64:65], s[10:11], v[16:17] op_sel_hi:[1,0,1]
	v_pk_fma_f32 v[134:135], v[64:65], s[10:11], v[16:17] op_sel_hi:[1,0,1] neg_lo:[0,0,1] neg_hi:[0,0,1]
	v_mov_b32_e32 v16, v132
	v_mov_b32_e32 v17, v135
	s_mov_b32 s42, 0x3eb8f4ab
	v_pk_add_f32 v[150:151], v[4:5], v[6:7] neg_lo:[0,1] neg_hi:[0,1]
	v_pk_add_f32 v[16:17], v[16:17], v[10:11]
	v_pk_add_f32 v[70:71], v[6:7], v[4:5]
	v_pk_mul_f32 v[10:11], v[150:151], s[42:43] op_sel:[1,0] op_sel_hi:[0,0]
	v_pk_mul_f32 v[18:19], v[150:151], s[40:41] op_sel:[1,0] op_sel_hi:[0,0]
	v_pk_fma_f32 v[140:141], v[70:71], s[36:37], v[10:11] op_sel_hi:[1,0,1]
	v_pk_fma_f32 v[142:143], v[70:71], s[36:37], v[10:11] op_sel_hi:[1,0,1] neg_lo:[0,0,1] neg_hi:[0,0,1]
	v_pk_fma_f32 v[136:137], v[70:71], s[26:27], v[18:19] op_sel_hi:[1,0,1]
	v_pk_fma_f32 v[138:139], v[70:71], s[26:27], v[18:19] op_sel_hi:[1,0,1] neg_lo:[0,0,1] neg_hi:[0,0,1]
	v_mov_b32_e32 v10, v140
	v_mov_b32_e32 v11, v143
	;; [unrolled: 1-line block ×4, first 2 shown]
	s_mov_b32 s48, 0xbf763a35
	v_pk_add_f32 v[10:11], v[10:11], v[8:9]
	v_pk_add_f32 v[8:9], v[18:19], v[16:17]
	v_pk_mul_f32 v[16:17], v[50:51], s[48:49] op_sel_hi:[1,0]
	v_pk_mul_f32 v[18:19], v[52:53], s[34:35] op_sel_hi:[1,0]
	v_pk_fma_f32 v[192:193], v[44:45], s[22:23], v[16:17] op_sel:[0,0,1] op_sel_hi:[1,0,0]
	v_pk_fma_f32 v[144:145], v[44:45], s[22:23], v[16:17] op_sel:[0,0,1] op_sel_hi:[1,0,0] neg_lo:[0,0,1] neg_hi:[0,0,1]
	v_mov_b32_e32 v16, v192
	v_mov_b32_e32 v17, v145
	v_pk_fma_f32 v[198:199], v[48:49], s[26:27], v[18:19] op_sel:[0,0,1] op_sel_hi:[1,0,0]
	v_pk_fma_f32 v[146:147], v[48:49], s[26:27], v[18:19] op_sel:[0,0,1] op_sel_hi:[1,0,0] neg_lo:[0,0,1] neg_hi:[0,0,1]
	v_mov_b32_e32 v18, v198
	v_mov_b32_e32 v19, v147
	v_pk_add_f32 v[16:17], v[16:17], v[0:1]
	s_mov_b32 s50, 0x3f7ee86f
	v_pk_add_f32 v[16:17], v[18:19], v[16:17]
	v_pk_mul_f32 v[18:19], v[54:55], s[38:39] op_sel_hi:[1,0]
	v_pk_mul_f32 v[26:27], v[52:53], s[14:15] op_sel_hi:[1,0]
	v_pk_fma_f32 v[200:201], v[46:47], s[4:5], v[18:19] op_sel:[0,0,1] op_sel_hi:[1,0,0]
	v_pk_fma_f32 v[148:149], v[46:47], s[4:5], v[18:19] op_sel:[0,0,1] op_sel_hi:[1,0,0] neg_lo:[0,0,1] neg_hi:[0,0,1]
	v_mov_b32_e32 v18, v200
	v_mov_b32_e32 v19, v149
	v_pk_add_f32 v[16:17], v[18:19], v[16:17]
	v_pk_mul_f32 v[18:19], v[56:57], s[2:3] op_sel_hi:[1,0]
	v_pk_fma_f32 v[160:161], v[48:49], s[6:7], v[26:27] op_sel:[0,0,1] op_sel_hi:[1,0,0]
	v_pk_fma_f32 v[202:203], v[24:25], s[28:29], v[18:19] op_sel:[0,0,1] op_sel_hi:[1,0,0]
	v_pk_fma_f32 v[152:153], v[24:25], s[28:29], v[18:19] op_sel:[0,0,1] op_sel_hi:[1,0,0] neg_lo:[0,0,1] neg_hi:[0,0,1]
	v_mov_b32_e32 v18, v202
	v_mov_b32_e32 v19, v153
	v_pk_add_f32 v[16:17], v[18:19], v[16:17]
	v_pk_mul_f32 v[18:19], v[66:67], s[14:15] op_sel_hi:[1,0]
	v_pk_fma_f32 v[162:163], v[48:49], s[6:7], v[26:27] op_sel:[0,0,1] op_sel_hi:[1,0,0] neg_lo:[0,0,1] neg_hi:[0,0,1]
	v_pk_fma_f32 v[204:205], v[60:61], s[6:7], v[18:19] op_sel:[0,0,1] op_sel_hi:[1,0,0]
	v_pk_fma_f32 v[154:155], v[60:61], s[6:7], v[18:19] op_sel:[0,0,1] op_sel_hi:[1,0,0] neg_lo:[0,0,1] neg_hi:[0,0,1]
	v_mov_b32_e32 v18, v204
	v_mov_b32_e32 v19, v155
	v_pk_add_f32 v[16:17], v[18:19], v[16:17]
	v_pk_mul_f32 v[18:19], v[68:69], s[50:51] op_sel_hi:[1,0]
	v_mov_b32_e32 v26, v160
	v_pk_fma_f32 v[72:73], v[62:63], s[10:11], v[18:19] op_sel:[0,0,1] op_sel_hi:[1,0,0]
	v_pk_fma_f32 v[76:77], v[62:63], s[10:11], v[18:19] op_sel:[0,0,1] op_sel_hi:[1,0,0] neg_lo:[0,0,1] neg_hi:[0,0,1]
	v_mov_b32_e32 v18, v72
	v_mov_b32_e32 v19, v77
	v_pk_add_f32 v[16:17], v[18:19], v[16:17]
	v_pk_mul_f32 v[18:19], v[50:51], s[20:21] op_sel_hi:[1,0]
	v_mov_b32_e32 v27, v163
	v_pk_fma_f32 v[156:157], v[44:45], s[10:11], v[18:19] op_sel:[0,0,1] op_sel_hi:[1,0,0]
	v_pk_fma_f32 v[158:159], v[44:45], s[10:11], v[18:19] op_sel:[0,0,1] op_sel_hi:[1,0,0] neg_lo:[0,0,1] neg_hi:[0,0,1]
	v_mov_b32_e32 v18, v156
	v_mov_b32_e32 v19, v159
	v_pk_add_f32 v[18:19], v[18:19], v[0:1]
	s_mov_b32 s52, 0x3f4c4adb
	v_pk_add_f32 v[18:19], v[26:27], v[18:19]
	v_pk_mul_f32 v[26:27], v[54:55], s[44:45] op_sel_hi:[1,0]
	v_pk_mul_f32 v[208:209], v[52:53], s[24:25] op_sel_hi:[1,0]
	v_pk_fma_f32 v[164:165], v[46:47], s[22:23], v[26:27] op_sel:[0,0,1] op_sel_hi:[1,0,0]
	v_pk_fma_f32 v[166:167], v[46:47], s[22:23], v[26:27] op_sel:[0,0,1] op_sel_hi:[1,0,0] neg_lo:[0,0,1] neg_hi:[0,0,1]
	v_mov_b32_e32 v26, v164
	v_mov_b32_e32 v27, v167
	v_pk_add_f32 v[18:19], v[26:27], v[18:19]
	v_pk_mul_f32 v[26:27], v[56:57], s[42:43] op_sel_hi:[1,0]
	v_pk_fma_f32 v[212:213], v[48:49], s[4:5], v[208:209] op_sel:[0,0,1] op_sel_hi:[1,0,0]
	v_pk_fma_f32 v[168:169], v[24:25], s[36:37], v[26:27] op_sel:[0,0,1] op_sel_hi:[1,0,0]
	v_pk_fma_f32 v[174:175], v[24:25], s[36:37], v[26:27] op_sel:[0,0,1] op_sel_hi:[1,0,0] neg_lo:[0,0,1] neg_hi:[0,0,1]
	v_mov_b32_e32 v26, v168
	v_mov_b32_e32 v27, v175
	v_pk_add_f32 v[18:19], v[26:27], v[18:19]
	v_pk_mul_f32 v[26:27], v[66:67], s[2:3] op_sel_hi:[1,0]
	v_pk_fma_f32 v[208:209], v[48:49], s[4:5], v[208:209] op_sel:[0,0,1] op_sel_hi:[1,0,0] neg_lo:[0,0,1] neg_hi:[0,0,1]
	v_pk_fma_f32 v[176:177], v[60:61], s[28:29], v[26:27] op_sel:[0,0,1] op_sel_hi:[1,0,0]
	v_pk_fma_f32 v[178:179], v[60:61], s[28:29], v[26:27] op_sel:[0,0,1] op_sel_hi:[1,0,0] neg_lo:[0,0,1] neg_hi:[0,0,1]
	v_mov_b32_e32 v26, v176
	v_mov_b32_e32 v27, v179
	v_pk_add_f32 v[18:19], v[26:27], v[18:19]
	v_pk_mul_f32 v[26:27], v[68:69], s[40:41] op_sel_hi:[1,0]
	v_mov_b32_e32 v214, v212
	v_pk_fma_f32 v[180:181], v[62:63], s[26:27], v[26:27] op_sel:[0,0,1] op_sel_hi:[1,0,0]
	v_pk_fma_f32 v[182:183], v[62:63], s[26:27], v[26:27] op_sel:[0,0,1] op_sel_hi:[1,0,0] neg_lo:[0,0,1] neg_hi:[0,0,1]
	v_mov_b32_e32 v26, v180
	v_mov_b32_e32 v27, v183
	v_pk_add_f32 v[18:19], v[26:27], v[18:19]
	v_pk_mul_f32 v[26:27], v[114:115], s[52:53] op_sel:[1,0] op_sel_hi:[0,0]
	v_pk_fma_f32 v[188:189], v[64:65], s[16:17], v[26:27] op_sel_hi:[1,0,1]
	v_pk_fma_f32 v[190:191], v[64:65], s[16:17], v[26:27] op_sel_hi:[1,0,1] neg_lo:[0,0,1] neg_hi:[0,0,1]
	v_mov_b32_e32 v26, v188
	v_mov_b32_e32 v27, v191
	v_pk_add_f32 v[18:19], v[26:27], v[18:19]
	v_pk_mul_f32 v[26:27], v[114:115], s[46:47] op_sel:[1,0] op_sel_hi:[0,0]
	v_pk_fma_f32 v[170:171], v[64:65], s[36:37], v[26:27] op_sel_hi:[1,0,1]
	v_pk_fma_f32 v[172:173], v[64:65], s[36:37], v[26:27] op_sel_hi:[1,0,1] neg_lo:[0,0,1] neg_hi:[0,0,1]
	;; [unrolled: 6-line block ×4, first 2 shown]
	v_mov_b32_e32 v26, v184
	v_mov_b32_e32 v27, v187
	v_pk_add_f32 v[16:17], v[26:27], v[16:17]
	v_pk_mul_f32 v[26:27], v[50:51], s[46:47] op_sel_hi:[1,0]
	v_mov_b32_e32 v215, v209
	v_pk_fma_f32 v[210:211], v[44:45], s[36:37], v[26:27] op_sel:[0,0,1] op_sel_hi:[1,0,0]
	v_pk_fma_f32 v[206:207], v[44:45], s[36:37], v[26:27] op_sel:[0,0,1] op_sel_hi:[1,0,0] neg_lo:[0,0,1] neg_hi:[0,0,1]
	v_mov_b32_e32 v26, v210
	v_mov_b32_e32 v27, v207
	v_pk_add_f32 v[26:27], v[26:27], v[0:1]
	v_pk_mul_f32 v[216:217], v[54:55], s[2:3] op_sel_hi:[1,0]
	v_pk_add_f32 v[26:27], v[214:215], v[26:27]
	v_pk_fma_f32 v[214:215], v[46:47], s[28:29], v[216:217] op_sel:[0,0,1] op_sel_hi:[1,0,0]
	v_pk_fma_f32 v[216:217], v[46:47], s[28:29], v[216:217] op_sel:[0,0,1] op_sel_hi:[1,0,0] neg_lo:[0,0,1] neg_hi:[0,0,1]
	v_mov_b32_e32 v218, v214
	v_mov_b32_e32 v219, v217
	v_pk_mul_f32 v[220:221], v[56:57], s[20:21] op_sel_hi:[1,0]
	v_pk_add_f32 v[26:27], v[218:219], v[26:27]
	v_pk_fma_f32 v[218:219], v[24:25], s[10:11], v[220:221] op_sel:[0,0,1] op_sel_hi:[1,0,0]
	v_pk_fma_f32 v[220:221], v[24:25], s[10:11], v[220:221] op_sel:[0,0,1] op_sel_hi:[1,0,0] neg_lo:[0,0,1] neg_hi:[0,0,1]
	v_mov_b32_e32 v222, v218
	v_mov_b32_e32 v223, v221
	v_pk_mul_f32 v[224:225], v[66:67], s[48:49] op_sel_hi:[1,0]
	v_pk_add_f32 v[26:27], v[222:223], v[26:27]
	v_pk_fma_f32 v[222:223], v[60:61], s[22:23], v[224:225] op_sel:[0,0,1] op_sel_hi:[1,0,0]
	v_pk_fma_f32 v[224:225], v[60:61], s[22:23], v[224:225] op_sel:[0,0,1] op_sel_hi:[1,0,0] neg_lo:[0,0,1] neg_hi:[0,0,1]
	v_mov_b32_e32 v226, v222
	v_mov_b32_e32 v227, v225
	v_pk_mul_f32 v[228:229], v[68:69], s[18:19] op_sel_hi:[1,0]
	v_pk_add_f32 v[26:27], v[226:227], v[26:27]
	v_pk_fma_f32 v[226:227], v[62:63], s[16:17], v[228:229] op_sel:[0,0,1] op_sel_hi:[1,0,0]
	v_pk_fma_f32 v[228:229], v[62:63], s[16:17], v[228:229] op_sel:[0,0,1] op_sel_hi:[1,0,0] neg_lo:[0,0,1] neg_hi:[0,0,1]
	v_mov_b32_e32 v230, v226
	v_mov_b32_e32 v231, v229
	v_pk_mul_f32 v[232:233], v[114:115], s[40:41] op_sel:[1,0] op_sel_hi:[0,0]
	v_pk_add_f32 v[26:27], v[230:231], v[26:27]
	v_pk_fma_f32 v[230:231], v[64:65], s[26:27], v[232:233] op_sel_hi:[1,0,1]
	v_pk_fma_f32 v[232:233], v[64:65], s[26:27], v[232:233] op_sel_hi:[1,0,1] neg_lo:[0,0,1] neg_hi:[0,0,1]
	s_load_dwordx2 s[34:35], s[0:1], 0x20
	s_load_dwordx2 s[2:3], s[0:1], 0x8
	v_mov_b32_e32 v234, v230
	v_mov_b32_e32 v235, v233
	v_pk_mul_f32 v[236:237], v[150:151], s[14:15] op_sel:[1,0] op_sel_hi:[0,0]
	v_pk_add_f32 v[26:27], v[234:235], v[26:27]
	v_pk_fma_f32 v[234:235], v[70:71], s[6:7], v[236:237] op_sel_hi:[1,0,1]
	v_pk_fma_f32 v[236:237], v[70:71], s[6:7], v[236:237] op_sel_hi:[1,0,1] neg_lo:[0,0,1] neg_hi:[0,0,1]
	v_accvgpr_read_b32 v72, a0
	v_mov_b32_e32 v240, v234
	v_mov_b32_e32 v241, v237
	v_mul_lo_u16_e32 v72, 17, v72
	v_pk_add_f32 v[26:27], v[240:241], v[26:27]
	v_accvgpr_write_b32 a7, v72
	s_waitcnt lgkmcnt(0)
	s_barrier
	s_and_saveexec_b64 s[0:1], vcc
	s_cbranch_execz .LBB0_7
; %bb.6:
	v_pk_add_f32 v[2:3], v[2:3], v[0:1]
	v_mov_b32_e32 v79, v81
	v_pk_add_f32 v[2:3], v[36:37], v[2:3]
	v_mov_b32_e32 v105, v103
	;; [unrolled: 2-line block ×5, first 2 shown]
	v_pk_add_f32 v[2:3], v[12:13], v[2:3]
	v_pk_add_f32 v[12:13], v[104:105], v[0:1]
	;; [unrolled: 1-line block ×5, first 2 shown]
	v_mov_b32_e32 v119, v117
	v_pk_add_f32 v[2:3], v[6:7], v[2:3]
	v_accvgpr_read_b32 v6, a7
	v_add_lshl_u32 v75, v238, v6, 3
	v_pk_add_f32 v[6:7], v[78:79], v[0:1]
	v_mov_b32_e32 v93, v91
	v_pk_add_f32 v[6:7], v[82:83], v[6:7]
	v_pk_add_f32 v[12:13], v[118:119], v[12:13]
	;; [unrolled: 1-line block ×3, first 2 shown]
	v_mov_b32_e32 v123, v121
	v_pk_add_f32 v[6:7], v[92:93], v[6:7]
	v_mov_b32_e32 v97, v95
	v_pk_add_f32 v[12:13], v[122:123], v[12:13]
	;; [unrolled: 2-line block ×8, first 2 shown]
	v_mov_b32_e32 v139, v137
	v_mov_b32_e32 v145, v193
	v_pk_add_f32 v[6:7], v[142:143], v[6:7]
	v_pk_add_f32 v[12:13], v[138:139], v[12:13]
	v_mov_b32_e32 v159, v157
	v_mov_b32_e32 v147, v199
	ds_write2_b64 v75, v[6:7], v[12:13] offset0:2 offset1:3
	v_pk_add_f32 v[6:7], v[158:159], v[0:1]
	v_mov_b32_e32 v163, v161
	v_pk_add_f32 v[12:13], v[144:145], v[0:1]
	v_mov_b32_e32 v149, v201
	;; [unrolled: 2-line block ×7, first 2 shown]
	v_pk_add_f32 v[12:13], v[152:153], v[12:13]
	v_pk_add_f32 v[6:7], v[178:179], v[6:7]
	v_mov_b32_e32 v183, v181
	v_pk_add_f32 v[12:13], v[154:155], v[12:13]
	v_mov_b32_e32 v77, v73
	;; [unrolled: 2-line block ×4, first 2 shown]
	v_pk_add_f32 v[2:3], v[20:21], v[2:3]
	v_pk_add_f32 v[6:7], v[190:191], v[6:7]
	v_mov_b32_e32 v197, v195
	v_pk_add_f32 v[12:13], v[172:173], v[12:13]
	v_mov_b32_e32 v187, v185
	v_pk_add_f32 v[2:3], v[22:23], v[2:3]
	v_pk_add_f32 v[6:7], v[196:197], v[6:7]
	;; [unrolled: 1-line block ×4, first 2 shown]
	ds_write2_b64 v75, v[6:7], v[12:13] offset0:4 offset1:5
	v_pk_mul_f32 v[6:7], v[50:51], s[18:19] op_sel_hi:[1,0]
	v_pk_add_f32 v[2:3], v[34:35], v[2:3]
	v_mov_b32_e32 v207, v211
	v_pk_mul_f32 v[12:13], v[52:53], s[44:45] op_sel_hi:[1,0]
	v_pk_fma_f32 v[34:35], v[44:45], s[16:17], v[6:7] op_sel:[0,0,1] op_sel_hi:[1,0,0] neg_lo:[0,0,1] neg_hi:[0,0,1]
	v_pk_fma_f32 v[6:7], v[44:45], s[16:17], v[6:7] op_sel:[0,0,1] op_sel_hi:[1,0,0]
	v_mov_b32_e32 v209, v213
	v_pk_add_f32 v[4:5], v[206:207], v[0:1]
	v_mov_b32_e32 v36, v34
	v_mov_b32_e32 v37, v7
	v_pk_fma_f32 v[38:39], v[48:49], s[22:23], v[12:13] op_sel:[0,0,1] op_sel_hi:[1,0,0] neg_lo:[0,0,1] neg_hi:[0,0,1]
	v_pk_fma_f32 v[12:13], v[48:49], s[22:23], v[12:13] op_sel:[0,0,1] op_sel_hi:[1,0,0]
	v_pk_add_f32 v[2:3], v[40:41], v[2:3]
	v_pk_add_f32 v[4:5], v[208:209], v[4:5]
	v_mov_b32_e32 v217, v215
	v_pk_mul_f32 v[14:15], v[54:55], s[46:47] op_sel_hi:[1,0]
	v_pk_add_f32 v[36:37], v[36:37], v[0:1]
	v_mov_b32_e32 v40, v38
	v_mov_b32_e32 v41, v13
	v_pk_add_f32 v[4:5], v[216:217], v[4:5]
	v_mov_b32_e32 v221, v219
	v_pk_add_f32 v[36:37], v[40:41], v[36:37]
	v_pk_fma_f32 v[40:41], v[46:47], s[36:37], v[14:15] op_sel:[0,0,1] op_sel_hi:[1,0,0] neg_lo:[0,0,1] neg_hi:[0,0,1]
	v_pk_fma_f32 v[14:15], v[46:47], s[36:37], v[14:15] op_sel:[0,0,1] op_sel_hi:[1,0,0]
	v_pk_add_f32 v[2:3], v[42:43], v[2:3]
	v_pk_add_f32 v[4:5], v[220:221], v[4:5]
	v_mov_b32_e32 v225, v223
	v_pk_mul_f32 v[20:21], v[56:57], s[40:41] op_sel_hi:[1,0]
	v_mov_b32_e32 v42, v40
	v_mov_b32_e32 v43, v15
	v_pk_add_f32 v[4:5], v[224:225], v[4:5]
	v_mov_b32_e32 v229, v227
	v_pk_add_f32 v[36:37], v[42:43], v[36:37]
	v_pk_fma_f32 v[42:43], v[24:25], s[26:27], v[20:21] op_sel:[0,0,1] op_sel_hi:[1,0,0] neg_lo:[0,0,1] neg_hi:[0,0,1]
	v_pk_fma_f32 v[20:21], v[24:25], s[26:27], v[20:21] op_sel:[0,0,1] op_sel_hi:[1,0,0]
	v_pk_add_f32 v[2:3], v[58:59], v[2:3]
	v_pk_add_f32 v[4:5], v[228:229], v[4:5]
	v_mov_b32_e32 v233, v231
	v_pk_mul_f32 v[22:23], v[66:67], s[50:51] op_sel_hi:[1,0]
	v_mov_b32_e32 v58, v42
	v_mov_b32_e32 v59, v21
	v_pk_add_f32 v[4:5], v[232:233], v[4:5]
	v_mov_b32_e32 v237, v235
	v_pk_add_f32 v[36:37], v[58:59], v[36:37]
	v_pk_fma_f32 v[58:59], v[60:61], s[10:11], v[22:23] op_sel:[0,0,1] op_sel_hi:[1,0,0] neg_lo:[0,0,1] neg_hi:[0,0,1]
	v_pk_fma_f32 v[22:23], v[60:61], s[10:11], v[22:23] op_sel:[0,0,1] op_sel_hi:[1,0,0]
	v_pk_add_f32 v[4:5], v[236:237], v[4:5]
	v_pk_mul_f32 v[28:29], v[68:69], s[24:25] op_sel_hi:[1,0]
	v_mov_b32_e32 v72, v58
	v_mov_b32_e32 v73, v23
	ds_write2_b64 v75, v[2:3], v[4:5] offset1:1
	v_mov_b32_e32 v2, v115
	v_mov_b32_e32 v3, v114
	v_pk_add_f32 v[36:37], v[72:73], v[36:37]
	v_pk_fma_f32 v[72:73], v[62:63], s[4:5], v[28:29] op_sel:[0,0,1] op_sel_hi:[1,0,0] neg_lo:[0,0,1] neg_hi:[0,0,1]
	v_pk_fma_f32 v[28:29], v[62:63], s[4:5], v[28:29] op_sel:[0,0,1] op_sel_hi:[1,0,0]
	v_pk_mul_f32 v[30:31], v[2:3], s[14:15] op_sel_hi:[1,0]
	v_mov_b32_e32 v76, v72
	v_mov_b32_e32 v77, v29
	v_mov_b32_e32 v4, v151
	v_mov_b32_e32 v5, v150
	v_pk_add_f32 v[36:37], v[76:77], v[36:37]
	v_pk_fma_f32 v[76:77], v[64:65], s[6:7], v[30:31] op_sel_hi:[1,0,1] neg_lo:[0,0,1] neg_hi:[0,0,1]
	v_pk_fma_f32 v[30:31], v[64:65], s[6:7], v[30:31] op_sel_hi:[1,0,1]
	v_pk_mul_f32 v[32:33], v[4:5], s[30:31] op_sel_hi:[1,0]
	v_mov_b32_e32 v78, v76
	v_mov_b32_e32 v79, v31
	v_pk_add_f32 v[36:37], v[78:79], v[36:37]
	v_pk_fma_f32 v[78:79], v[70:71], s[28:29], v[32:33] op_sel_hi:[1,0,1] neg_lo:[0,0,1] neg_hi:[0,0,1]
	v_pk_fma_f32 v[32:33], v[70:71], s[28:29], v[32:33] op_sel_hi:[1,0,1]
	v_mov_b32_e32 v80, v78
	v_mov_b32_e32 v81, v33
	v_pk_add_f32 v[36:37], v[80:81], v[36:37]
	v_pk_mul_f32 v[80:81], v[50:51], s[40:41] op_sel_hi:[1,0]
	v_pk_mul_f32 v[82:83], v[52:53], s[30:31] op_sel_hi:[1,0]
	v_pk_fma_f32 v[96:97], v[44:45], s[26:27], v[80:81] op_sel:[0,0,1] op_sel_hi:[1,0,0] neg_lo:[0,0,1] neg_hi:[0,0,1]
	v_pk_fma_f32 v[80:81], v[44:45], s[26:27], v[80:81] op_sel:[0,0,1] op_sel_hi:[1,0,0]
	v_mov_b32_e32 v98, v96
	v_mov_b32_e32 v99, v81
	v_pk_fma_f32 v[100:101], v[48:49], s[28:29], v[82:83] op_sel:[0,0,1] op_sel_hi:[1,0,0] neg_lo:[0,0,1] neg_hi:[0,0,1]
	v_pk_fma_f32 v[82:83], v[48:49], s[28:29], v[82:83] op_sel:[0,0,1] op_sel_hi:[1,0,0]
	v_pk_mul_f32 v[84:85], v[54:55], s[20:21] op_sel_hi:[1,0]
	v_pk_add_f32 v[98:99], v[98:99], v[0:1]
	v_mov_b32_e32 v102, v100
	v_mov_b32_e32 v103, v83
	v_pk_add_f32 v[98:99], v[102:103], v[98:99]
	v_pk_fma_f32 v[102:103], v[46:47], s[10:11], v[84:85] op_sel:[0,0,1] op_sel_hi:[1,0,0] neg_lo:[0,0,1] neg_hi:[0,0,1]
	v_pk_fma_f32 v[84:85], v[46:47], s[10:11], v[84:85] op_sel:[0,0,1] op_sel_hi:[1,0,0]
	v_pk_mul_f32 v[86:87], v[56:57], s[52:53] op_sel_hi:[1,0]
	v_mov_b32_e32 v104, v102
	v_mov_b32_e32 v105, v85
	v_pk_add_f32 v[98:99], v[104:105], v[98:99]
	v_pk_fma_f32 v[104:105], v[24:25], s[16:17], v[86:87] op_sel:[0,0,1] op_sel_hi:[1,0,0] neg_lo:[0,0,1] neg_hi:[0,0,1]
	v_pk_fma_f32 v[86:87], v[24:25], s[16:17], v[86:87] op_sel:[0,0,1] op_sel_hi:[1,0,0]
	v_pk_mul_f32 v[88:89], v[66:67], s[46:47] op_sel_hi:[1,0]
	;; [unrolled: 6-line block ×4, first 2 shown]
	v_mov_b32_e32 v110, v108
	v_mov_b32_e32 v111, v91
	v_pk_add_f32 v[98:99], v[110:111], v[98:99]
	v_pk_fma_f32 v[110:111], v[64:65], s[4:5], v[92:93] op_sel_hi:[1,0,1] neg_lo:[0,0,1] neg_hi:[0,0,1]
	v_pk_fma_f32 v[92:93], v[64:65], s[4:5], v[92:93] op_sel_hi:[1,0,1]
	v_pk_mul_f32 v[94:95], v[4:5], s[48:49] op_sel_hi:[1,0]
	v_mov_b32_e32 v112, v110
	v_mov_b32_e32 v113, v93
	v_pk_add_f32 v[98:99], v[112:113], v[98:99]
	v_pk_fma_f32 v[112:113], v[70:71], s[22:23], v[94:95] op_sel_hi:[1,0,1] neg_lo:[0,0,1] neg_hi:[0,0,1]
	v_pk_fma_f32 v[94:95], v[70:71], s[22:23], v[94:95] op_sel_hi:[1,0,1]
	v_mov_b32_e32 v114, v112
	v_mov_b32_e32 v115, v95
	v_pk_add_f32 v[98:99], v[114:115], v[98:99]
	ds_write2_b64 v75, v[36:37], v[98:99] offset0:6 offset1:7
	v_pk_mul_f32 v[36:37], v[50:51], s[14:15] op_sel_hi:[1,0]
	v_pk_mul_f32 v[50:51], v[52:53], s[42:43] op_sel_hi:[1,0]
	;; [unrolled: 1-line block ×6, first 2 shown]
	v_pk_fma_f32 v[68:69], v[44:45], s[6:7], v[36:37] op_sel:[0,0,1] op_sel_hi:[1,0,0] neg_lo:[0,0,1] neg_hi:[0,0,1]
	v_pk_fma_f32 v[36:37], v[44:45], s[6:7], v[36:37] op_sel:[0,0,1] op_sel_hi:[1,0,0]
	v_mov_b32_e32 v44, v68
	v_mov_b32_e32 v45, v37
	v_pk_fma_f32 v[98:99], v[48:49], s[36:37], v[50:51] op_sel:[0,0,1] op_sel_hi:[1,0,0] neg_lo:[0,0,1] neg_hi:[0,0,1]
	v_pk_fma_f32 v[48:49], v[48:49], s[36:37], v[50:51] op_sel:[0,0,1] op_sel_hi:[1,0,0]
	v_pk_add_f32 v[44:45], v[44:45], v[0:1]
	v_mov_b32_e32 v50, v98
	v_mov_b32_e32 v51, v49
	v_pk_add_f32 v[44:45], v[50:51], v[44:45]
	v_pk_fma_f32 v[50:51], v[46:47], s[26:27], v[52:53] op_sel:[0,0,1] op_sel_hi:[1,0,0] neg_lo:[0,0,1] neg_hi:[0,0,1]
	v_pk_fma_f32 v[46:47], v[46:47], s[26:27], v[52:53] op_sel:[0,0,1] op_sel_hi:[1,0,0]
	v_mov_b32_e32 v52, v50
	v_mov_b32_e32 v53, v47
	v_pk_add_f32 v[44:45], v[52:53], v[44:45]
	v_pk_fma_f32 v[52:53], v[24:25], s[4:5], v[54:55] op_sel:[0,0,1] op_sel_hi:[1,0,0] neg_lo:[0,0,1] neg_hi:[0,0,1]
	v_pk_fma_f32 v[24:25], v[24:25], s[4:5], v[54:55] op_sel:[0,0,1] op_sel_hi:[1,0,0]
	;; [unrolled: 5-line block ×3, first 2 shown]
	v_mov_b32_e32 v37, v69
	v_mov_b32_e32 v60, v54
	v_mov_b32_e32 v61, v57
	v_pk_add_f32 v[36:37], v[36:37], v[0:1]
	v_mov_b32_e32 v49, v99
	v_pk_add_f32 v[44:45], v[60:61], v[44:45]
	v_pk_fma_f32 v[60:61], v[62:63], s[28:29], v[66:67] op_sel:[0,0,1] op_sel_hi:[1,0,0] neg_lo:[0,0,1] neg_hi:[0,0,1]
	v_pk_fma_f32 v[62:63], v[62:63], s[28:29], v[66:67] op_sel:[0,0,1] op_sel_hi:[1,0,0]
	v_pk_add_f32 v[36:37], v[48:49], v[36:37]
	v_mov_b32_e32 v47, v51
	v_pk_mul_f32 v[2:3], v[2:3], s[48:49] op_sel_hi:[1,0]
	v_mov_b32_e32 v66, v60
	v_mov_b32_e32 v67, v63
	v_pk_add_f32 v[36:37], v[46:47], v[36:37]
	v_mov_b32_e32 v25, v53
	v_pk_add_f32 v[44:45], v[66:67], v[44:45]
	v_pk_fma_f32 v[66:67], v[64:65], s[22:23], v[2:3] op_sel_hi:[1,0,1] neg_lo:[0,0,1] neg_hi:[0,0,1]
	v_pk_fma_f32 v[2:3], v[64:65], s[22:23], v[2:3] op_sel_hi:[1,0,1]
	v_pk_add_f32 v[24:25], v[24:25], v[36:37]
	v_mov_b32_e32 v57, v55
	v_pk_mul_f32 v[4:5], v[4:5], s[50:51] op_sel_hi:[1,0]
	v_mov_b32_e32 v64, v66
	v_mov_b32_e32 v65, v3
	v_pk_add_f32 v[24:25], v[56:57], v[24:25]
	v_mov_b32_e32 v63, v61
	v_pk_add_f32 v[44:45], v[64:65], v[44:45]
	v_pk_fma_f32 v[64:65], v[70:71], s[10:11], v[4:5] op_sel_hi:[1,0,1] neg_lo:[0,0,1] neg_hi:[0,0,1]
	v_pk_fma_f32 v[4:5], v[70:71], s[10:11], v[4:5] op_sel_hi:[1,0,1]
	v_pk_add_f32 v[24:25], v[62:63], v[24:25]
	v_mov_b32_e32 v3, v67
	v_mov_b32_e32 v70, v64
	;; [unrolled: 1-line block ×3, first 2 shown]
	v_pk_add_f32 v[2:3], v[2:3], v[24:25]
	v_mov_b32_e32 v5, v65
	v_pk_add_f32 v[44:45], v[70:71], v[44:45]
	v_pk_add_f32 v[2:3], v[4:5], v[2:3]
	v_mov_b32_e32 v81, v97
	v_mov_b32_e32 v7, v35
	ds_write2_b64 v75, v[44:45], v[2:3] offset0:8 offset1:9
	v_pk_add_f32 v[2:3], v[80:81], v[0:1]
	v_mov_b32_e32 v83, v101
	v_pk_add_f32 v[0:1], v[6:7], v[0:1]
	v_mov_b32_e32 v13, v39
	;; [unrolled: 2-line block ×14, first 2 shown]
	v_pk_add_f32 v[2:3], v[94:95], v[2:3]
	v_pk_add_f32 v[0:1], v[32:33], v[0:1]
	ds_write2_b64 v75, v[2:3], v[0:1] offset0:10 offset1:11
	ds_write2_b64 v75, v[16:17], v[18:19] offset0:12 offset1:13
	;; [unrolled: 1-line block ×3, first 2 shown]
	ds_write_b64 v75, v[26:27] offset:128
.LBB0_7:
	s_or_b64 exec, exec, s[0:1]
	v_accvgpr_read_b32 v2, a0
	v_add_lshl_u32 v82, v238, v2, 3
	v_add_u32_e32 v0, 0xc00, v82
	s_waitcnt lgkmcnt(0)
	s_barrier
	ds_read2_b64 v[48:51], v82 offset1:68
	ds_read2_b64 v[28:31], v82 offset0:136 offset1:238
	ds_read2_b64 v[52:55], v0 offset0:92 offset1:160
	v_add_u32_e32 v0, 0x1000, v82
	ds_read2_b64 v[36:39], v0 offset0:100 offset1:202
	v_add_u32_e32 v0, 0x800, v82
	;; [unrolled: 2-line block ×3, first 2 shown]
	ds_read2_b64 v[32:35], v0 offset0:14 offset1:82
	v_cmp_gt_u16_e64 s[0:1], 34, v2
	s_and_saveexec_b64 s[4:5], s[0:1]
	s_cbranch_execz .LBB0_9
; %bb.8:
	v_add_u32_e32 v0, 0x600, v82
	ds_read2_b64 v[16:19], v0 offset0:12 offset1:250
	v_add_u32_e32 v0, 0x1500, v82
	ds_read2_b64 v[8:11], v0 offset0:8 offset1:246
.LBB0_9:
	s_or_b64 exec, exec, s[4:5]
	s_movk_i32 s10, 0xf1
	v_accvgpr_read_b32 v56, a0
	v_mul_lo_u16_sdwa v0, v56, s10 dst_sel:DWORD dst_unused:UNUSED_PAD src0_sel:BYTE_0 src1_sel:DWORD
	v_lshrrev_b16_e32 v22, 12, v0
	v_mul_lo_u16_e32 v0, 17, v22
	v_add_u16_e32 v44, 0xcc, v56
	v_sub_u16_e32 v0, v56, v0
	v_mul_u32_u24_e32 v45, 0xf0f1, v44
	v_and_b32_e32 v23, 0xff, v0
	v_lshrrev_b32_e32 v0, 20, v45
	v_accvgpr_write_b32 a3, v0
	v_mul_lo_u16_e32 v0, 17, v0
	v_sub_u16_e32 v0, v44, v0
	v_accvgpr_write_b32 a6, v0
	v_mul_lo_u16_e32 v0, 24, v0
	v_mov_b32_e32 v1, 0
	v_lshl_add_u64 v[4:5], s[2:3], 0, v[0:1]
	global_load_dwordx2 v[70:71], v[4:5], off offset:16
	global_load_dwordx4 v[0:3], v[4:5], off
	v_mad_u64_u32 v[12:13], s[4:5], v23, 24, s[2:3]
	global_load_dwordx4 v[4:7], v[12:13], off
	global_load_dwordx2 v[90:91], v[12:13], off offset:16
	v_add_u16_e32 v12, 0x44, v56
	v_mul_lo_u16_sdwa v13, v12, s10 dst_sel:DWORD dst_unused:UNUSED_PAD src0_sel:BYTE_0 src1_sel:DWORD
	v_lshrrev_b16_e32 v24, 12, v13
	v_mul_lo_u16_e32 v13, 17, v24
	v_sub_u16_e32 v12, v12, v13
	v_and_b32_e32 v46, 0xff, v12
	v_mad_u64_u32 v[20:21], s[4:5], v46, 24, s[2:3]
	global_load_dwordx4 v[12:15], v[20:21], off
	global_load_dwordx2 v[72:73], v[20:21], off offset:16
	v_add_u16_e32 v56, 0x88, v56
	v_mul_lo_u16_sdwa v20, v56, s10 dst_sel:DWORD dst_unused:UNUSED_PAD src0_sel:BYTE_0 src1_sel:DWORD
	v_lshrrev_b16_e32 v57, 12, v20
	v_mul_lo_u16_e32 v20, 17, v57
	v_sub_u16_e32 v20, v56, v20
	v_and_b32_e32 v68, 0xff, v20
	v_mul_u32_u24_e32 v21, 0x44, v22
	v_mul_u32_u24_e32 v47, 0x44, v24
	v_mad_u64_u32 v[24:25], s[10:11], v68, 24, s[2:3]
	s_load_dwordx4 s[4:7], s[34:35], 0x0
	v_add_u32_e32 v58, v21, v23
	global_load_dwordx2 v[76:77], v[24:25], off offset:16
	global_load_dwordx4 v[20:23], v[24:25], off
	v_add_u32_e32 v69, v47, v46
	v_add_lshl_u32 v75, v238, v58, 3
	s_waitcnt lgkmcnt(0)
	s_barrier
	s_movk_i32 s15, 0x44
	s_mov_b32 s14, 0xf0f1
	v_accvgpr_write_b32 a12, v75
	s_waitcnt vmcnt(7)
	v_pk_mul_f32 v[58:59], v[10:11], v[70:71] op_sel_hi:[0,1]
	s_waitcnt vmcnt(6)
	v_pk_mul_f32 v[24:25], v[18:19], v[0:1] op_sel_hi:[0,1]
	v_pk_mul_f32 v[46:47], v[8:9], v[2:3] op_sel:[1,0]
	s_waitcnt vmcnt(5)
	v_pk_mul_f32 v[60:61], v[30:31], v[4:5] op_sel:[0,1]
	v_mov_b32_e32 v62, v7
	s_waitcnt vmcnt(4)
	v_pk_mul_f32 v[64:65], v[38:39], v[90:91] op_sel:[0,1]
	v_pk_fma_f32 v[66:67], v[18:19], v[0:1], v[24:25] op_sel:[1,0,1] op_sel_hi:[1,1,0]
	v_pk_fma_f32 v[18:19], v[18:19], v[0:1], v[24:25] op_sel:[1,0,1] op_sel_hi:[1,1,0] neg_lo:[1,0,0] neg_hi:[1,0,0]
	v_pk_fma_f32 v[24:25], v[8:9], v[2:3], v[46:47] op_sel:[0,0,1] op_sel_hi:[1,1,0] neg_lo:[0,0,1] neg_hi:[0,0,1]
	v_pk_fma_f32 v[8:9], v[8:9], v[2:3], v[46:47] op_sel:[0,0,1] op_sel_hi:[0,1,0]
	v_pk_fma_f32 v[46:47], v[10:11], v[70:71], v[58:59] op_sel:[1,0,1] op_sel_hi:[1,1,0]
	v_pk_fma_f32 v[10:11], v[10:11], v[70:71], v[58:59] op_sel:[1,0,1] op_sel_hi:[1,1,0] neg_lo:[1,0,0] neg_hi:[1,0,0]
	v_pk_fma_f32 v[58:59], v[30:31], v[4:5], v[60:61] op_sel:[0,0,1] op_sel_hi:[1,1,0] neg_lo:[0,0,1] neg_hi:[0,0,1]
	v_pk_fma_f32 v[30:31], v[30:31], v[4:5], v[60:61] op_sel:[0,0,1] op_sel_hi:[1,0,0]
	v_pk_mul_f32 v[60:61], v[52:53], v[62:63] op_sel_hi:[1,0]
	v_pk_fma_f32 v[62:63], v[38:39], v[90:91], v[64:65] op_sel:[0,0,1] op_sel_hi:[1,1,0] neg_lo:[0,0,1] neg_hi:[0,0,1]
	v_pk_fma_f32 v[38:39], v[38:39], v[90:91], v[64:65] op_sel:[0,0,1] op_sel_hi:[1,0,0]
	v_mov_b32_e32 v67, v19
	v_mov_b32_e32 v25, v9
	;; [unrolled: 1-line block ×3, first 2 shown]
	v_pk_fma_f32 v[18:19], v[52:53], v[6:7], v[60:61] op_sel:[0,0,1] op_sel_hi:[1,1,0] neg_lo:[0,0,1] neg_hi:[0,0,1]
	v_pk_fma_f32 v[10:11], v[52:53], v[6:7], v[60:61] op_sel:[0,0,1] op_sel_hi:[1,0,0]
	v_mov_b32_e32 v59, v31
	v_mov_b32_e32 v63, v39
	v_pk_add_f32 v[8:9], v[16:17], v[24:25] neg_lo:[0,1] neg_hi:[0,1]
	v_pk_add_f32 v[30:31], v[66:67], v[46:47] neg_lo:[0,1] neg_hi:[0,1]
	v_mov_b32_e32 v19, v11
	v_pk_add_f32 v[38:39], v[58:59], v[62:63] neg_lo:[0,1] neg_hi:[0,1]
	v_pk_fma_f32 v[10:11], v[16:17], 2.0, v[8:9] op_sel_hi:[1,0,1] neg_lo:[0,0,1] neg_hi:[0,0,1]
	v_pk_fma_f32 v[16:17], v[66:67], 2.0, v[30:31] op_sel_hi:[1,0,1] neg_lo:[0,0,1] neg_hi:[0,0,1]
	v_pk_add_f32 v[24:25], v[8:9], v[30:31] neg_lo:[0,1] neg_hi:[0,1]
	v_pk_add_f32 v[30:31], v[8:9], v[30:31]
	v_pk_add_f32 v[18:19], v[48:49], v[18:19] neg_lo:[0,1] neg_hi:[0,1]
	v_pk_fma_f32 v[52:53], v[58:59], 2.0, v[38:39] op_sel_hi:[1,0,1] neg_lo:[0,0,1] neg_hi:[0,0,1]
	v_pk_add_f32 v[46:47], v[10:11], v[16:17] op_sel:[0,1] op_sel_hi:[1,0] neg_lo:[0,1] neg_hi:[0,1]
	v_mov_b32_e32 v25, v31
	v_pk_fma_f32 v[16:17], v[48:49], 2.0, v[18:19] op_sel_hi:[1,0,1] neg_lo:[0,0,1] neg_hi:[0,0,1]
	v_pk_add_f32 v[30:31], v[18:19], v[38:39] op_sel:[0,1] op_sel_hi:[1,0] neg_lo:[0,1] neg_hi:[0,1]
	v_pk_add_f32 v[38:39], v[18:19], v[38:39] op_sel:[0,1] op_sel_hi:[1,0]
	v_pk_add_f32 v[48:49], v[16:17], v[52:53] neg_lo:[0,1] neg_hi:[0,1]
	v_mov_b32_e32 v31, v39
	v_pk_fma_f32 v[16:17], v[16:17], 2.0, v[48:49] op_sel_hi:[1,0,1] neg_lo:[0,0,1] neg_hi:[0,0,1]
	v_pk_fma_f32 v[18:19], v[18:19], 2.0, v[30:31] op_sel_hi:[1,0,1] neg_lo:[0,0,1] neg_hi:[0,0,1]
	ds_write2_b64 v75, v[16:17], v[18:19] offset1:17
	s_waitcnt vmcnt(3)
	v_pk_mul_f32 v[16:17], v[40:41], v[12:13] op_sel:[0,1]
	ds_write2_b64 v75, v[48:49], v[30:31] offset0:34 offset1:51
	v_pk_fma_f32 v[18:19], v[40:41], v[12:13], v[16:17] op_sel:[0,0,1] op_sel_hi:[1,1,0] neg_lo:[0,0,1] neg_hi:[0,0,1]
	v_pk_fma_f32 v[16:17], v[40:41], v[12:13], v[16:17] op_sel:[0,0,1] op_sel_hi:[1,0,0]
	v_add_lshl_u32 v48, v238, v69, 3
	v_mov_b32_e32 v16, v15
	v_mov_b32_e32 v19, v17
	v_pk_mul_f32 v[16:17], v[54:55], v[16:17] op_sel_hi:[1,0]
	v_accvgpr_write_b32 a4, v70
	v_pk_fma_f32 v[30:31], v[54:55], v[14:15], v[16:17] op_sel:[0,0,1] op_sel_hi:[1,1,0] neg_lo:[0,0,1] neg_hi:[0,0,1]
	v_pk_fma_f32 v[16:17], v[54:55], v[14:15], v[16:17] op_sel:[0,0,1] op_sel_hi:[1,0,0]
	s_waitcnt vmcnt(2)
	v_accvgpr_write_b32 a10, v72
	v_mov_b32_e32 v31, v17
	v_pk_mul_f32 v[16:17], v[32:33], v[72:73] op_sel:[0,1]
	s_waitcnt vmcnt(1)
	v_accvgpr_write_b32 a16, v76
	v_pk_fma_f32 v[38:39], v[32:33], v[72:73], v[16:17] op_sel:[0,0,1] op_sel_hi:[1,1,0] neg_lo:[0,0,1] neg_hi:[0,0,1]
	v_pk_fma_f32 v[16:17], v[32:33], v[72:73], v[16:17] op_sel:[0,0,1] op_sel_hi:[1,0,0]
	v_accvgpr_write_b32 a5, v71
	v_mov_b32_e32 v39, v17
	v_pk_add_f32 v[16:17], v[50:51], v[30:31] neg_lo:[0,1] neg_hi:[0,1]
	v_pk_add_f32 v[32:33], v[18:19], v[38:39] neg_lo:[0,1] neg_hi:[0,1]
	v_pk_fma_f32 v[30:31], v[50:51], 2.0, v[16:17] op_sel_hi:[1,0,1] neg_lo:[0,0,1] neg_hi:[0,0,1]
	v_pk_fma_f32 v[18:19], v[18:19], 2.0, v[32:33] op_sel_hi:[1,0,1] neg_lo:[0,0,1] neg_hi:[0,0,1]
	v_pk_add_f32 v[38:39], v[16:17], v[32:33] op_sel:[0,1] op_sel_hi:[1,0] neg_lo:[0,1] neg_hi:[0,1]
	v_pk_add_f32 v[32:33], v[16:17], v[32:33] op_sel:[0,1] op_sel_hi:[1,0]
	v_pk_add_f32 v[18:19], v[30:31], v[18:19] neg_lo:[0,1] neg_hi:[0,1]
	v_mov_b32_e32 v39, v33
	v_pk_fma_f32 v[30:31], v[30:31], 2.0, v[18:19] op_sel_hi:[1,0,1] neg_lo:[0,0,1] neg_hi:[0,0,1]
	v_pk_fma_f32 v[16:17], v[16:17], 2.0, v[38:39] op_sel_hi:[1,0,1] neg_lo:[0,0,1] neg_hi:[0,0,1]
	ds_write2_b64 v48, v[30:31], v[16:17] offset1:17
	v_mul_u32_u24_e32 v16, 0x44, v57
	v_add_u32_e32 v16, v16, v68
	ds_write2_b64 v48, v[18:19], v[38:39] offset0:34 offset1:51
	v_add_lshl_u32 v38, v238, v16, 3
	s_waitcnt vmcnt(0)
	v_pk_mul_f32 v[16:17], v[42:43], v[20:21] op_sel:[0,1]
	v_accvgpr_write_b32 a11, v73
	v_pk_fma_f32 v[18:19], v[42:43], v[20:21], v[16:17] op_sel:[0,0,1] op_sel_hi:[1,1,0] neg_lo:[0,0,1] neg_hi:[0,0,1]
	v_pk_fma_f32 v[16:17], v[42:43], v[20:21], v[16:17] op_sel:[0,0,1] op_sel_hi:[1,0,0]
	v_accvgpr_write_b32 a13, v48
	v_mov_b32_e32 v16, v23
	v_mov_b32_e32 v19, v17
	v_pk_mul_f32 v[16:17], v[36:37], v[16:17] op_sel_hi:[1,0]
	v_accvgpr_write_b32 a17, v77
	v_pk_fma_f32 v[30:31], v[36:37], v[22:23], v[16:17] op_sel:[0,0,1] op_sel_hi:[1,1,0] neg_lo:[0,0,1] neg_hi:[0,0,1]
	v_pk_fma_f32 v[16:17], v[36:37], v[22:23], v[16:17] op_sel:[0,0,1] op_sel_hi:[1,0,0]
	v_accvgpr_write_b32 a20, v38
	v_mov_b32_e32 v31, v17
	v_pk_mul_f32 v[16:17], v[34:35], v[76:77] op_sel:[0,1]
	s_nop 0
	v_pk_fma_f32 v[32:33], v[34:35], v[76:77], v[16:17] op_sel:[0,0,1] op_sel_hi:[1,1,0] neg_lo:[0,0,1] neg_hi:[0,0,1]
	v_pk_fma_f32 v[16:17], v[34:35], v[76:77], v[16:17] op_sel:[0,0,1] op_sel_hi:[1,0,0]
	s_nop 0
	v_mov_b32_e32 v33, v17
	v_pk_add_f32 v[16:17], v[28:29], v[30:31] neg_lo:[0,1] neg_hi:[0,1]
	v_pk_add_f32 v[30:31], v[18:19], v[32:33] neg_lo:[0,1] neg_hi:[0,1]
	v_pk_fma_f32 v[28:29], v[28:29], 2.0, v[16:17] op_sel_hi:[1,0,1] neg_lo:[0,0,1] neg_hi:[0,0,1]
	v_pk_fma_f32 v[18:19], v[18:19], 2.0, v[30:31] op_sel_hi:[1,0,1] neg_lo:[0,0,1] neg_hi:[0,0,1]
	v_pk_add_f32 v[32:33], v[16:17], v[30:31] op_sel:[0,1] op_sel_hi:[1,0] neg_lo:[0,1] neg_hi:[0,1]
	v_pk_add_f32 v[30:31], v[16:17], v[30:31] op_sel:[0,1] op_sel_hi:[1,0]
	v_pk_add_f32 v[18:19], v[28:29], v[18:19] neg_lo:[0,1] neg_hi:[0,1]
	v_mov_b32_e32 v33, v31
	v_pk_fma_f32 v[28:29], v[28:29], 2.0, v[18:19] op_sel_hi:[1,0,1] neg_lo:[0,0,1] neg_hi:[0,0,1]
	v_pk_fma_f32 v[16:17], v[16:17], 2.0, v[32:33] op_sel_hi:[1,0,1] neg_lo:[0,0,1] neg_hi:[0,0,1]
	ds_write2_b64 v38, v[28:29], v[16:17] offset1:17
	ds_write2_b64 v38, v[18:19], v[32:33] offset0:34 offset1:51
	s_and_saveexec_b64 s[10:11], s[0:1]
	s_cbranch_execz .LBB0_11
; %bb.10:
	v_accvgpr_read_b32 v16, a3
	v_accvgpr_read_b32 v17, a6
	v_mad_legacy_u16 v16, v16, s15, v17
	v_add_lshl_u32 v16, v238, v16, 3
	v_pk_fma_f32 v[10:11], v[10:11], 2.0, v[46:47] op_sel_hi:[1,0,1] neg_lo:[0,0,1] neg_hi:[0,0,1]
	v_pk_fma_f32 v[8:9], v[8:9], 2.0, v[24:25] op_sel_hi:[1,0,1] neg_lo:[0,0,1] neg_hi:[0,0,1]
	ds_write2_b64 v16, v[10:11], v[8:9] offset1:17
	ds_write2_b64 v16, v[46:47], v[24:25] offset0:34 offset1:51
.LBB0_11:
	s_or_b64 exec, exec, s[10:11]
	v_accvgpr_read_b32 v88, a0
	v_add_u32_e32 v8, 0x110, v88
	v_mul_u32_u24_sdwa v17, v8, s14 dst_sel:DWORD dst_unused:UNUSED_PAD src0_sel:WORD_0 src1_sel:DWORD
	v_lshrrev_b32_e32 v17, 22, v17
	v_add_u32_e32 v9, 0x154, v88
	v_mul_lo_u16_e32 v17, 0x44, v17
	v_sub_u16_e32 v51, v8, v17
	v_mul_u32_u24_sdwa v17, v9, s14 dst_sel:DWORD dst_unused:UNUSED_PAD src0_sel:WORD_0 src1_sel:DWORD
	v_lshrrev_b32_e32 v17, 22, v17
	v_add_u32_e32 v10, 0x198, v88
	s_movk_i32 s10, 0x79
	v_mul_lo_u16_e32 v17, 0x44, v17
	v_mul_lo_u16_sdwa v11, v56, s10 dst_sel:DWORD dst_unused:UNUSED_PAD src0_sel:BYTE_0 src1_sel:DWORD
	v_sub_u16_e32 v52, v9, v17
	v_mul_u32_u24_sdwa v17, v10, s14 dst_sel:DWORD dst_unused:UNUSED_PAD src0_sel:WORD_0 src1_sel:DWORD
	v_lshrrev_b16_e32 v11, 13, v11
	v_lshrrev_b32_e32 v17, 22, v17
	v_mul_lo_u16_e32 v11, 0x44, v11
	v_lshrrev_b32_e32 v16, 22, v45
	v_mul_lo_u16_e32 v17, 0x44, v17
	s_waitcnt lgkmcnt(0)
	s_barrier
	v_sub_u16_e32 v11, v56, v11
	v_mul_lo_u16_e32 v16, 0x44, v16
	global_load_dwordx2 v[84:85], v74, s[2:3] offset:408
	v_sub_u16_e32 v53, v10, v17
	v_sub_u16_e32 v50, v44, v16
	v_lshlrev_b32_e32 v8, 3, v51
	v_lshlrev_b32_e32 v10, 3, v53
	v_and_b32_e32 v54, 0xff, v11
	v_lshlrev_b32_e32 v16, 3, v50
	v_lshlrev_b32_e32 v9, 3, v52
	global_load_dwordx2 v[96:97], v10, s[2:3] offset:408
	global_load_dwordx2 v[70:71], v16, s[2:3] offset:408
	;; [unrolled: 1-line block ×4, first 2 shown]
	v_lshlrev_b32_e32 v8, 3, v54
	global_load_dwordx2 v[68:69], v8, s[2:3] offset:408
	ds_read2_b64 v[8:11], v82 offset1:68
	v_add_u32_e32 v62, 0xc00, v82
	v_add_u32_e32 v63, 0x800, v82
	;; [unrolled: 1-line block ×5, first 2 shown]
	ds_read_b64 v[44:45], v82 offset:1088
	ds_read_b64 v[48:49], v82 offset:4896
	ds_read2_b64 v[16:19], v62 offset0:92 offset1:160
	ds_read2_b64 v[28:31], v63 offset0:84 offset1:152
	;; [unrolled: 1-line block ×5, first 2 shown]
	v_add_lshl_u32 v75, v238, v50, 3
	v_add_lshl_u32 v73, v238, v51, 3
	;; [unrolled: 1-line block ×5, first 2 shown]
	s_waitcnt lgkmcnt(0)
	s_barrier
	s_movk_i32 s19, 0x1000
	v_accvgpr_write_b32 a23, v73
	v_accvgpr_write_b32 a22, v72
	;; [unrolled: 1-line block ×5, first 2 shown]
	s_mov_b32 s16, 0x3f4a47b2
	s_mov_b32 s22, 0x3d64c772
	;; [unrolled: 1-line block ×7, first 2 shown]
	s_waitcnt vmcnt(5)
	v_pk_mul_f32 v[50:51], v[16:17], v[84:85] op_sel:[0,1]
	v_pk_mul_f32 v[52:53], v[18:19], v[84:85] op_sel:[0,1]
	v_pk_fma_f32 v[54:55], v[16:17], v[84:85], v[50:51] op_sel:[0,0,1] op_sel_hi:[1,1,0] neg_lo:[0,0,1] neg_hi:[0,0,1]
	v_pk_fma_f32 v[16:17], v[16:17], v[84:85], v[50:51] op_sel:[0,0,1] op_sel_hi:[1,0,0]
	v_pk_fma_f32 v[50:51], v[18:19], v[84:85], v[52:53] op_sel:[0,0,1] op_sel_hi:[1,1,0] neg_lo:[0,0,1] neg_hi:[0,0,1]
	v_pk_fma_f32 v[18:19], v[18:19], v[84:85], v[52:53] op_sel:[0,0,1] op_sel_hi:[1,0,0]
	v_mov_b32_e32 v55, v17
	s_waitcnt vmcnt(4)
	v_pk_mul_f32 v[52:53], v[34:35], v[96:97] op_sel:[0,1]
	v_pk_add_f32 v[16:17], v[8:9], v[54:55] neg_lo:[0,1] neg_hi:[0,1]
	v_pk_fma_f32 v[54:55], v[34:35], v[96:97], v[52:53] op_sel:[0,0,1] op_sel_hi:[1,1,0] neg_lo:[0,0,1] neg_hi:[0,0,1]
	v_pk_fma_f32 v[34:35], v[34:35], v[96:97], v[52:53] op_sel:[0,0,1] op_sel_hi:[1,0,0]
	s_waitcnt vmcnt(1)
	v_pk_mul_f32 v[52:53], v[32:33], v[94:95] op_sel:[0,1]
	v_pk_mul_f32 v[56:57], v[42:43], v[92:93] op_sel:[0,1]
	;; [unrolled: 1-line block ×3, first 2 shown]
	s_waitcnt vmcnt(0)
	v_pk_mul_f32 v[60:61], v[48:49], v[68:69] op_sel:[0,1]
	v_mov_b32_e32 v55, v35
	v_pk_fma_f32 v[34:35], v[32:33], v[94:95], v[52:53] op_sel:[0,0,1] op_sel_hi:[1,1,0] neg_lo:[0,0,1] neg_hi:[0,0,1]
	v_pk_fma_f32 v[32:33], v[32:33], v[94:95], v[52:53] op_sel:[0,0,1] op_sel_hi:[1,0,0]
	v_pk_fma_f32 v[52:53], v[42:43], v[92:93], v[56:57] op_sel:[0,0,1] op_sel_hi:[1,1,0] neg_lo:[0,0,1] neg_hi:[0,0,1]
	v_pk_fma_f32 v[42:43], v[42:43], v[92:93], v[56:57] op_sel:[0,0,1] op_sel_hi:[1,0,0]
	;; [unrolled: 2-line block ×4, first 2 shown]
	v_mov_b32_e32 v51, v19
	v_pk_fma_f32 v[8:9], v[8:9], 2.0, v[16:17] op_sel_hi:[1,0,1] neg_lo:[0,0,1] neg_hi:[0,0,1]
	v_mov_b32_e32 v59, v49
	v_pk_add_f32 v[18:19], v[10:11], v[50:51] neg_lo:[0,1] neg_hi:[0,1]
	v_mov_b32_e32 v53, v43
	v_mov_b32_e32 v57, v41
	v_pk_add_f32 v[42:43], v[44:45], v[58:59] neg_lo:[0,1] neg_hi:[0,1]
	ds_write2_b64 v82, v[8:9], v[16:17] offset1:68
	v_pk_fma_f32 v[8:9], v[10:11], 2.0, v[18:19] op_sel_hi:[1,0,1] neg_lo:[0,0,1] neg_hi:[0,0,1]
	v_mov_b32_e32 v35, v33
	v_pk_add_f32 v[40:41], v[36:37], v[56:57] neg_lo:[0,1] neg_hi:[0,1]
	v_pk_fma_f32 v[44:45], v[44:45], 2.0, v[42:43] op_sel_hi:[1,0,1] neg_lo:[0,0,1] neg_hi:[0,0,1]
	ds_write2_b64 v82, v[8:9], v[18:19] offset0:136 offset1:204
	v_add_u32_e32 v8, 0x800, v76
	v_pk_add_f32 v[32:33], v[28:29], v[34:35] neg_lo:[0,1] neg_hi:[0,1]
	v_pk_add_f32 v[34:35], v[38:39], v[52:53] neg_lo:[0,1] neg_hi:[0,1]
	ds_write2_b64 v8, v[44:45], v[42:43] offset0:16 offset1:84
	v_pk_fma_f32 v[8:9], v[36:37], 2.0, v[40:41] op_sel_hi:[1,0,1] neg_lo:[0,0,1] neg_hi:[0,0,1]
	v_add_u32_e32 v10, 0x800, v75
	ds_write2_b64 v10, v[8:9], v[40:41] offset0:152 offset1:220
	v_pk_fma_f32 v[8:9], v[38:39], 2.0, v[34:35] op_sel_hi:[1,0,1] neg_lo:[0,0,1] neg_hi:[0,0,1]
	v_add_u32_e32 v10, 0x1000, v73
	v_mad_u64_u32 v[44:45], s[2:3], v88, 48, s[2:3]
	v_pk_add_f32 v[54:55], v[30:31], v[54:55] neg_lo:[0,1] neg_hi:[0,1]
	ds_write2_b64 v10, v[8:9], v[34:35] offset0:32 offset1:100
	v_pk_fma_f32 v[8:9], v[28:29], 2.0, v[32:33] op_sel_hi:[1,0,1] neg_lo:[0,0,1] neg_hi:[0,0,1]
	v_add_u32_e32 v10, 0x1000, v72
	s_mov_b64 s[2:3], 0x1078
	ds_write2_b64 v10, v[8:9], v[32:33] offset0:168 offset1:236
	v_pk_fma_f32 v[8:9], v[30:31], 2.0, v[54:55] op_sel_hi:[1,0,1] neg_lo:[0,0,1] neg_hi:[0,0,1]
	v_add_u32_e32 v10, 0x1800, v67
	v_lshl_add_u64 v[48:49], v[44:45], 0, s[2:3]
	v_add_co_u32_e64 v50, s[2:3], s19, v44
	ds_write2_b64 v10, v[8:9], v[54:55] offset0:48 offset1:116
	s_waitcnt lgkmcnt(0)
	s_barrier
	global_load_dwordx4 v[36:39], v[48:49], off offset:16
	v_addc_co_u32_e64 v51, s[2:3], 0, v45, s[2:3]
	global_load_dwordx4 v[16:19], v[50:51], off offset:120
	global_load_dwordx4 v[8:11], v[48:49], off offset:32
	;; [unrolled: 1-line block ×5, first 2 shown]
	v_accvgpr_write_b32 a18, v70
	v_accvgpr_write_b32 a14, v68
	v_accvgpr_write_b32 a19, v71
	v_accvgpr_write_b32 a15, v69
	ds_read2_b64 v[48:51], v63 offset0:84 offset1:152
	ds_read2_b64 v[52:55], v62 offset0:92 offset1:160
	;; [unrolled: 1-line block ×4, first 2 shown]
	ds_read_b64 v[44:45], v82 offset:1088
	ds_read_b64 v[72:73], v82 offset:4896
	ds_read2_b64 v[64:67], v66 offset0:168 offset1:236
	ds_read2_b64 v[68:71], v82 offset1:68
	s_mov_b32 s2, 0x3ee1c552
	s_waitcnt vmcnt(4) lgkmcnt(7)
	v_mul_f32_e32 v83, v49, v19
	s_waitcnt lgkmcnt(6)
	v_mul_f32_e32 v77, v52, v37
	s_waitcnt vmcnt(3) lgkmcnt(5)
	v_mul_f32_e32 v87, v59, v11
	v_mul_f32_e32 v104, v58, v11
	s_waitcnt vmcnt(1) lgkmcnt(3)
	v_pk_mul_f32 v[106:107], v[44:45], v[32:33] op_sel:[0,1]
	v_mul_f32_e32 v75, v53, v37
	v_mul_f32_e32 v100, v48, v19
	v_pk_mul_f32 v[98:99], v[50:51], v[40:41] op_sel:[0,1]
	v_mov_b32_e32 v76, v43
	v_fmac_f32_e32 v77, v53, v36
	v_fma_f32 v105, v58, v10, -v87
	v_fmac_f32_e32 v104, v59, v10
	v_pk_fma_f32 v[58:59], v[44:45], v[32:33], v[106:107] op_sel:[0,0,1] op_sel_hi:[1,1,0] neg_lo:[0,0,1] neg_hi:[0,0,1]
	v_pk_fma_f32 v[44:45], v[44:45], v[32:33], v[106:107] op_sel:[0,0,1] op_sel_hi:[1,0,0]
	v_fma_f32 v108, v52, v36, -v75
	v_fma_f32 v101, v48, v18, -v83
	v_fmac_f32_e32 v100, v49, v18
	v_pk_fma_f32 v[48:49], v[50:51], v[40:41], v[98:99] op_sel:[0,0,1] op_sel_hi:[1,1,0] neg_lo:[0,0,1] neg_hi:[0,0,1]
	v_pk_fma_f32 v[50:51], v[50:51], v[40:41], v[98:99] op_sel:[0,0,1] op_sel_hi:[1,0,0]
	v_pk_mul_f32 v[52:53], v[54:55], v[76:77] op_sel_hi:[1,0]
	v_mov_b32_e32 v44, v35
	v_mov_b32_e32 v49, v51
	v_pk_fma_f32 v[50:51], v[54:55], v[42:43], v[52:53] op_sel:[0,0,1] op_sel_hi:[1,1,0] neg_lo:[0,0,1] neg_hi:[0,0,1]
	v_pk_fma_f32 v[52:53], v[54:55], v[42:43], v[52:53] op_sel:[0,0,1] op_sel_hi:[1,0,0]
	v_mov_b32_e32 v59, v45
	v_pk_mul_f32 v[44:45], v[62:63], v[44:45] op_sel_hi:[1,0]
	v_mov_b32_e32 v51, v53
	v_pk_fma_f32 v[52:53], v[62:63], v[34:35], v[44:45] op_sel:[0,0,1] op_sel_hi:[1,1,0] neg_lo:[0,0,1] neg_hi:[0,0,1]
	v_pk_fma_f32 v[44:45], v[62:63], v[34:35], v[44:45] op_sel:[0,0,1] op_sel_hi:[1,0,0]
	v_mul_f32_e32 v81, v61, v17
	v_mov_b32_e32 v53, v45
	s_waitcnt vmcnt(0) lgkmcnt(1)
	v_pk_mul_f32 v[44:45], v[64:65], v[28:29] op_sel:[0,1]
	v_mul_f32_e32 v80, v60, v17
	v_pk_fma_f32 v[54:55], v[64:65], v[28:29], v[44:45] op_sel:[0,0,1] op_sel_hi:[1,1,0] neg_lo:[0,0,1] neg_hi:[0,0,1]
	v_pk_fma_f32 v[44:45], v[64:65], v[28:29], v[44:45] op_sel:[0,0,1] op_sel_hi:[1,0,0]
	v_fma_f32 v81, v60, v16, -v81
	v_mov_b32_e32 v44, v31
	v_mov_b32_e32 v55, v45
	v_pk_mul_f32 v[44:45], v[56:57], v[44:45] op_sel_hi:[1,0]
	v_fmac_f32_e32 v80, v61, v16
	v_pk_fma_f32 v[60:61], v[56:57], v[30:31], v[44:45] op_sel:[0,0,1] op_sel_hi:[1,1,0] neg_lo:[0,0,1] neg_hi:[0,0,1]
	v_pk_fma_f32 v[44:45], v[56:57], v[30:31], v[44:45] op_sel:[0,0,1] op_sel_hi:[1,0,0]
	v_mul_f32_e32 v102, v66, v9
	v_mov_b32_e32 v61, v45
	v_pk_add_f32 v[44:45], v[58:59], v[60:61]
	v_pk_add_f32 v[56:57], v[58:59], v[60:61] neg_lo:[0,1] neg_hi:[0,1]
	v_pk_add_f32 v[58:59], v[52:53], v[54:55]
	v_pk_add_f32 v[52:53], v[52:53], v[54:55] neg_lo:[0,1] neg_hi:[0,1]
	;; [unrolled: 2-line block ×3, first 2 shown]
	v_pk_add_f32 v[50:51], v[58:59], v[44:45]
	v_pk_add_f32 v[62:63], v[48:49], v[52:53] op_sel:[1,1] op_sel_hi:[0,0]
	v_pk_add_f32 v[60:61], v[58:59], v[44:45] neg_lo:[0,1] neg_hi:[0,1]
	v_pk_add_f32 v[44:45], v[44:45], v[54:55] neg_lo:[0,1] neg_hi:[0,1]
	;; [unrolled: 1-line block ×3, first 2 shown]
	v_pk_add_f32 v[64:65], v[48:49], v[52:53] op_sel:[1,1] op_sel_hi:[0,0] neg_lo:[0,1] neg_hi:[0,1]
	v_pk_add_f32 v[48:49], v[56:57], v[48:49] op_sel:[1,1] op_sel_hi:[0,0] neg_lo:[0,1] neg_hi:[0,1]
	;; [unrolled: 1-line block ×3, first 2 shown]
	v_pk_add_f32 v[56:57], v[62:63], v[56:57] op_sel:[0,1] op_sel_hi:[1,0]
	v_mov_b32_e32 v62, v50
	v_mov_b32_e32 v63, v55
	;; [unrolled: 1-line block ×3, first 2 shown]
	v_pk_add_f32 v[50:51], v[62:63], v[54:55]
	v_pk_mul_f32 v[54:55], v[44:45], s[16:17] op_sel_hi:[1,0]
	s_waitcnt lgkmcnt(0)
	v_pk_add_f32 v[98:99], v[68:69], v[50:51]
	v_pk_mul_f32 v[58:59], v[58:59], s[22:23] op_sel_hi:[1,0]
	v_pk_mul_f32 v[62:63], v[64:65], s[24:25] op_sel_hi:[1,0]
	;; [unrolled: 1-line block ×3, first 2 shown]
	v_mul_f32_e32 v78, v73, v39
	v_mul_f32_e32 v79, v72, v39
	v_fmac_f32_e32 v102, v67, v8
	v_pk_fma_f32 v[50:51], v[50:51], s[10:11], v[98:99] op_sel_hi:[1,0,1] neg_lo:[1,0,0] neg_hi:[1,0,0]
	v_pk_fma_f32 v[44:45], v[44:45], s[16:17], v[58:59] op_sel_hi:[1,0,1]
	v_pk_fma_f32 v[58:59], v[60:61], s[14:15], v[58:59] op_sel_hi:[1,0,1] neg_lo:[0,0,1] neg_hi:[0,0,1]
	v_pk_fma_f32 v[54:55], v[60:61], s[14:15], v[54:55] op_sel_hi:[1,0,1] neg_lo:[1,0,1] neg_hi:[1,0,1]
	v_pk_fma_f32 v[60:61], v[48:49], s[20:21], v[62:63] op_sel_hi:[1,0,1]
	v_pk_fma_f32 v[52:53], v[52:53], s[18:19], v[62:63] op_sel_hi:[1,0,1] neg_lo:[0,0,1] neg_hi:[0,0,1]
	v_pk_fma_f32 v[48:49], v[48:49], s[20:21], v[64:65] op_sel_hi:[1,0,1] neg_lo:[1,0,1] neg_hi:[1,0,1]
	v_mul_f32_e32 v86, v67, v9
	v_fma_f32 v72, v72, v38, -v78
	v_fmac_f32_e32 v79, v73, v38
	v_pk_add_f32 v[44:45], v[44:45], v[50:51]
	v_pk_add_f32 v[58:59], v[58:59], v[50:51]
	;; [unrolled: 1-line block ×3, first 2 shown]
	v_pk_fma_f32 v[54:55], v[56:57], s[2:3], v[60:61] op_sel_hi:[1,0,1]
	v_pk_fma_f32 v[60:61], v[56:57], s[2:3], v[52:53] op_sel_hi:[1,0,1]
	;; [unrolled: 1-line block ×3, first 2 shown]
	v_mov_b32_e32 v109, v100
	v_mov_b32_e32 v73, v102
	;; [unrolled: 1-line block ×4, first 2 shown]
	v_fma_f32 v103, v66, v8, -v86
	v_pk_add_f32 v[62:63], v[44:45], v[54:55]
	v_pk_add_f32 v[54:55], v[44:45], v[54:55] neg_lo:[0,1] neg_hi:[0,1]
	v_pk_add_f32 v[44:45], v[50:51], v[52:53]
	v_pk_add_f32 v[52:53], v[50:51], v[52:53] neg_lo:[0,1] neg_hi:[0,1]
	v_pk_add_f32 v[64:65], v[58:59], v[60:61] neg_lo:[0,1] neg_hi:[0,1]
	v_pk_add_f32 v[58:59], v[58:59], v[60:61]
	v_pk_add_f32 v[66:67], v[108:109], v[72:73]
	;; [unrolled: 1-line block ×3, first 2 shown]
	v_mov_b32_e32 v78, v79
	v_mov_b32_e32 v79, v72
	;; [unrolled: 1-line block ×13, first 2 shown]
	v_add_f32_e32 v45, v80, v104
	v_add_f32_e32 v60, v101, v103
	v_pk_add_f32 v[62:63], v[80:81], v[104:105] neg_lo:[0,1] neg_hi:[0,1]
	v_pk_add_f32 v[64:65], v[100:101], v[102:103] neg_lo:[0,1] neg_hi:[0,1]
	;; [unrolled: 1-line block ×3, first 2 shown]
	v_mov_b32_e32 v61, v67
	v_mov_b32_e32 v44, v68
	v_add_f32_e32 v75, v67, v45
	v_pk_add_f32 v[78:79], v[60:61], v[44:45] neg_lo:[0,1] neg_hi:[0,1]
	v_mov_b32_e32 v44, v66
	v_mov_b32_e32 v61, v69
	;; [unrolled: 1-line block ×6, first 2 shown]
	v_add_f32_e32 v76, v60, v68
	v_pk_add_f32 v[44:45], v[44:45], v[60:61] neg_lo:[0,1] neg_hi:[0,1]
	v_pk_add_f32 v[80:81], v[68:69], v[66:67] neg_lo:[0,1] neg_hi:[0,1]
	v_pk_add_f32 v[60:61], v[72:73], v[64:65]
	v_pk_add_f32 v[100:101], v[100:101], v[102:103] neg_lo:[0,1] neg_hi:[0,1]
	v_mov_b32_e32 v102, v62
	v_mov_b32_e32 v73, v65
	;; [unrolled: 1-line block ×4, first 2 shown]
	s_mov_b32 s23, s16
	s_mov_b32 s17, s22
	v_pk_add_f32 v[72:73], v[102:103], v[72:73] neg_lo:[0,1] neg_hi:[0,1]
	v_pk_add_f32 v[66:67], v[76:77], v[66:67]
	v_pk_mul_f32 v[44:45], v[44:45], s[22:23]
	v_pk_mul_f32 v[68:69], v[80:81], s[16:17]
	s_mov_b32 s21, s24
	s_mov_b32 s25, s20
	v_pk_add_f32 v[64:65], v[64:65], v[62:63] neg_lo:[0,1] neg_hi:[0,1]
	v_pk_add_f32 v[62:63], v[60:61], v[62:63]
	v_pk_add_f32 v[60:61], v[70:71], v[66:67]
	v_pk_mul_f32 v[70:71], v[72:73], s[20:21]
	v_pk_mul_f32 v[76:77], v[100:101], s[24:25]
	v_mov_b32_e32 v101, v69
	v_mov_b32_e32 v69, v45
	v_pk_fma_f32 v[80:81], v[80:81], s[16:17], v[44:45]
	v_mov_b32_e32 v100, v44
	v_pk_fma_f32 v[44:45], v[78:79], s[14:15], v[68:69] op_sel_hi:[1,0,1] neg_lo:[1,0,1] neg_hi:[1,0,1]
	v_pk_fma_f32 v[68:69], v[72:73], s[20:21], v[76:77]
	v_mov_b32_e32 v72, v76
	v_mov_b32_e32 v73, v71
	;; [unrolled: 1-line block ×3, first 2 shown]
	v_pk_fma_f32 v[66:67], v[66:67], s[10:11], v[60:61] op_sel_hi:[1,0,1] neg_lo:[1,0,0] neg_hi:[1,0,0]
	v_pk_fma_f32 v[100:101], v[78:79], s[14:15], v[100:101] op_sel_hi:[1,0,1] neg_lo:[0,0,1] neg_hi:[0,0,1]
	v_pk_fma_f32 v[72:73], v[64:65], s[18:19], v[72:73] op_sel_hi:[1,0,1] neg_lo:[0,0,1] neg_hi:[0,0,1]
	v_pk_fma_f32 v[64:65], v[64:65], s[18:19], v[70:71] op_sel_hi:[1,0,1] neg_lo:[1,0,1] neg_hi:[1,0,1]
	v_pk_add_f32 v[76:77], v[80:81], v[66:67]
	v_pk_add_f32 v[78:79], v[100:101], v[66:67]
	;; [unrolled: 1-line block ×3, first 2 shown]
	v_pk_fma_f32 v[80:81], v[62:63], s[2:3], v[68:69] op_sel_hi:[1,0,1]
	v_pk_fma_f32 v[66:67], v[62:63], s[2:3], v[72:73] op_sel_hi:[1,0,1]
	;; [unrolled: 1-line block ×3, first 2 shown]
	v_pk_add_f32 v[68:69], v[78:79], v[66:67]
	v_pk_add_f32 v[72:73], v[44:45], v[62:63]
	v_pk_add_f32 v[70:71], v[44:45], v[62:63] neg_lo:[0,1] neg_hi:[0,1]
	v_pk_add_f32 v[44:45], v[78:79], v[66:67] neg_lo:[0,1] neg_hi:[0,1]
	v_pk_add_f32 v[62:63], v[76:77], v[80:81]
	v_mov_b32_e32 v64, v72
	v_mov_b32_e32 v65, v71
	;; [unrolled: 1-line block ×5, first 2 shown]
	v_pk_add_f32 v[72:73], v[76:77], v[80:81] neg_lo:[0,1] neg_hi:[0,1]
	v_mov_b32_e32 v45, v63
	v_accvgpr_read_b32 v63, a1
	v_mov_b32_e32 v66, v44
	v_mov_b32_e32 v44, v72
	v_lshl_add_u32 v72, v88, 3, v63
	v_add_u32_e32 v83, v63, v74
	v_accvgpr_write_b32 a26, v72
	ds_write_b64 v72, v[98:99]
	v_mov_b32_e32 v63, v73
	v_add_u32_e32 v72, 0x400, v83
	ds_write2_b64 v72, v[62:63], v[50:51] offset0:76 offset1:144
	v_add_u32_e32 v77, 0x800, v83
	v_add_u32_e32 v76, 0xc00, v83
	;; [unrolled: 1-line block ×4, first 2 shown]
	ds_write2_b64 v83, v[60:61], v[48:49] offset0:68 offset1:136
	ds_write2_b64 v77, v[64:65], v[56:57] offset0:84 offset1:152
	;; [unrolled: 1-line block ×5, first 2 shown]
	ds_write_b64 v83, v[44:45] offset:7072
	s_waitcnt lgkmcnt(0)
	s_barrier
	s_and_saveexec_b64 s[10:11], vcc
	s_cbranch_execz .LBB0_13
; %bb.12:
	s_add_u32 s14, s8, 0x1dc0
	s_addc_u32 s15, s9, 0
	global_load_dwordx2 v[80:81], v74, s[14:15]
	v_accvgpr_read_b32 v86, a26
	ds_read_b64 v[78:79], v86
	v_mov_b32_e32 v75, 0
	v_lshl_add_u64 v[100:101], s[14:15], 0, v[74:75]
	v_add_co_u32_e64 v100, s[2:3], s19, v100
	s_waitcnt vmcnt(0) lgkmcnt(0)
	v_mul_f32_e32 v75, v79, v81
	v_mul_f32_e32 v103, v78, v81
	v_fma_f32 v102, v78, v80, -v75
	v_fmac_f32_e32 v103, v79, v80
	ds_write_b64 v86, v[102:103]
	global_load_dwordx2 v[102:103], v74, s[14:15] offset:448
	ds_read2_b64 v[78:81], v83 offset0:56 offset1:112
	v_addc_co_u32_e64 v101, s[2:3], 0, v101, s[2:3]
	s_waitcnt vmcnt(0) lgkmcnt(0)
	v_mul_f32_e32 v75, v79, v103
	v_mul_f32_e32 v105, v78, v103
	v_fma_f32 v104, v78, v102, -v75
	v_fmac_f32_e32 v105, v79, v102
	global_load_dwordx2 v[78:79], v74, s[14:15] offset:896
	s_waitcnt vmcnt(0)
	v_mul_f32_e32 v75, v81, v79
	v_mul_f32_e32 v103, v80, v79
	v_fma_f32 v102, v80, v78, -v75
	v_fmac_f32_e32 v103, v81, v78
	ds_write2_b64 v83, v[104:105], v[102:103] offset0:56 offset1:112
	global_load_dwordx2 v[102:103], v74, s[14:15] offset:1344
	ds_read2_b64 v[78:81], v83 offset0:168 offset1:224
	s_waitcnt vmcnt(0) lgkmcnt(0)
	v_mul_f32_e32 v75, v79, v103
	v_mul_f32_e32 v105, v78, v103
	v_fma_f32 v104, v78, v102, -v75
	v_fmac_f32_e32 v105, v79, v102
	global_load_dwordx2 v[78:79], v74, s[14:15] offset:1792
	s_waitcnt vmcnt(0)
	v_mul_f32_e32 v75, v81, v79
	v_mul_f32_e32 v103, v80, v79
	v_fma_f32 v102, v80, v78, -v75
	v_fmac_f32_e32 v103, v81, v78
	ds_write2_b64 v83, v[104:105], v[102:103] offset0:168 offset1:224
	global_load_dwordx2 v[102:103], v74, s[14:15] offset:2240
	ds_read2_b64 v[78:81], v77 offset0:24 offset1:80
	;; [unrolled: 14-line block ×4, first 2 shown]
	s_waitcnt vmcnt(0) lgkmcnt(0)
	v_mul_f32_e32 v75, v79, v103
	v_mul_f32_e32 v105, v78, v103
	v_fma_f32 v104, v78, v102, -v75
	v_fmac_f32_e32 v105, v79, v102
	global_load_dwordx2 v[78:79], v[100:101], off offset:384
	s_waitcnt vmcnt(0)
	v_mul_f32_e32 v75, v81, v79
	v_mul_f32_e32 v103, v80, v79
	v_fma_f32 v102, v80, v78, -v75
	v_fmac_f32_e32 v103, v81, v78
	global_load_dwordx2 v[80:81], v[100:101], off offset:832
	ds_write2_b64 v76, v[104:105], v[102:103] offset0:120 offset1:176
	ds_read2_b64 v[76:79], v73 offset0:104 offset1:160
	s_waitcnt vmcnt(0) lgkmcnt(0)
	v_mul_f32_e32 v75, v77, v81
	v_mul_f32_e32 v103, v76, v81
	v_fma_f32 v102, v76, v80, -v75
	v_fmac_f32_e32 v103, v77, v80
	global_load_dwordx2 v[76:77], v[100:101], off offset:1280
	s_waitcnt vmcnt(0)
	v_mul_f32_e32 v75, v79, v77
	v_mul_f32_e32 v81, v78, v77
	v_fma_f32 v80, v78, v76, -v75
	v_fmac_f32_e32 v81, v79, v76
	ds_write2_b64 v73, v[102:103], v[80:81] offset0:104 offset1:160
	global_load_dwordx2 v[80:81], v[100:101], off offset:1728
	ds_read2_b64 v[76:79], v72 offset0:88 offset1:144
	v_add_u32_e32 v75, 0x1800, v83
	s_waitcnt vmcnt(0) lgkmcnt(0)
	v_mul_f32_e32 v73, v77, v81
	v_mul_f32_e32 v103, v76, v81
	v_fma_f32 v102, v76, v80, -v73
	v_fmac_f32_e32 v103, v77, v80
	global_load_dwordx2 v[76:77], v[100:101], off offset:2176
	s_waitcnt vmcnt(0)
	v_mul_f32_e32 v73, v79, v77
	v_mul_f32_e32 v81, v78, v77
	v_fma_f32 v80, v78, v76, -v73
	v_fmac_f32_e32 v81, v79, v76
	ds_write2_b64 v72, v[102:103], v[80:81] offset0:88 offset1:144
	global_load_dwordx2 v[72:73], v[100:101], off offset:2624
	ds_read2_b64 v[76:79], v75 offset0:72 offset1:128
	s_waitcnt vmcnt(0) lgkmcnt(0)
	v_mul_f32_e32 v80, v77, v73
	v_mul_f32_e32 v81, v76, v73
	v_fma_f32 v80, v76, v72, -v80
	v_fmac_f32_e32 v81, v77, v72
	v_or_b32_e32 v72, 0x1c00, v74
	global_load_dwordx2 v[72:73], v72, s[14:15]
	s_waitcnt vmcnt(0)
	v_mul_f32_e32 v76, v79, v73
	v_mul_f32_e32 v77, v78, v73
	v_fma_f32 v76, v78, v72, -v76
	v_fmac_f32_e32 v77, v79, v72
	ds_write2_b64 v75, v[80:81], v[76:77] offset0:72 offset1:128
.LBB0_13:
	s_or_b64 exec, exec, s[10:11]
	s_waitcnt lgkmcnt(0)
	s_barrier
	s_and_saveexec_b64 s[2:3], vcc
	s_cbranch_execz .LBB0_15
; %bb.14:
	v_accvgpr_read_b32 v25, a26
	v_add_u32_e32 v24, 0x800, v25
	ds_read_b64 v[98:99], v25
	ds_read2_b64 v[48:51], v25 offset0:56 offset1:112
	ds_read2_b64 v[56:59], v25 offset0:168 offset1:224
	;; [unrolled: 1-line block ×4, first 2 shown]
	v_add_u32_e32 v24, 0xc00, v25
	ds_read2_b64 v[64:67], v24 offset0:120 offset1:176
	v_add_u32_e32 v24, 0x1000, v25
	ds_read2_b64 v[68:71], v24 offset0:104 offset1:160
	;; [unrolled: 2-line block ×4, first 2 shown]
.LBB0_15:
	s_or_b64 exec, exec, s[2:3]
	s_waitcnt lgkmcnt(0)
	v_pk_add_f32 v[72:73], v[50:51], v[24:25] neg_lo:[0,1] neg_hi:[0,1]
	v_pk_add_f32 v[126:127], v[50:51], v[24:25]
	v_mov_b32_e32 v105, v72
	v_mov_b32_e32 v104, v126
	v_mov_b32_e32 v126, v73
	v_pk_add_f32 v[72:73], v[56:57], v[46:47] neg_lo:[0,1] neg_hi:[0,1]
	v_pk_add_f32 v[128:129], v[56:57], v[46:47]
	v_mov_b32_e32 v109, v72
	v_mov_b32_e32 v108, v128
	v_mov_b32_e32 v128, v73
	;; [unrolled: 5-line block ×5, first 2 shown]
	v_pk_add_f32 v[72:73], v[60:61], v[66:67] neg_lo:[0,1] neg_hi:[0,1]
	v_pk_add_f32 v[136:137], v[60:61], v[66:67]
	v_pk_add_f32 v[122:123], v[26:27], v[48:49]
	v_pk_add_f32 v[124:125], v[48:49], v[26:27] neg_lo:[0,1] neg_hi:[0,1]
	v_mov_b32_e32 v116, v136
	v_mov_b32_e32 v117, v72
	;; [unrolled: 1-line block ×3, first 2 shown]
	v_pk_add_f32 v[72:73], v[62:63], v[64:65] neg_lo:[0,1] neg_hi:[0,1]
	v_pk_add_f32 v[138:139], v[62:63], v[64:65]
	s_mov_b32 s50, 0xbf2c7751
	v_mov_b32_e32 v118, v138
	v_mov_b32_e32 v119, v72
	;; [unrolled: 1-line block ×5, first 2 shown]
	s_mov_b32 s51, 0x3f3d2fb0
	s_mov_b32 s44, 0xbf7ee86f
	v_pk_mul_f32 v[142:143], v[72:73], s[50:51]
	v_mov_b32_e32 v160, v122
	v_mov_b32_e32 v161, v124
	s_mov_b32 s2, s51
	s_mov_b32 s3, s50
	;; [unrolled: 1-line block ×3, first 2 shown]
	v_pk_fma_f32 v[76:77], v[160:161], s[2:3], v[142:143] neg_lo:[0,0,1] neg_hi:[0,0,1]
	v_pk_fma_f32 v[140:141], v[160:161], s[2:3], v[142:143]
	v_pk_mul_f32 v[146:147], v[126:127], s[44:45]
	s_mov_b32 s10, s45
	s_mov_b32 s11, s44
	;; [unrolled: 1-line block ×3, first 2 shown]
	v_mov_b32_e32 v77, v141
	v_pk_fma_f32 v[78:79], v[104:105], s[10:11], v[146:147] neg_lo:[0,0,1] neg_hi:[0,0,1]
	v_pk_fma_f32 v[144:145], v[104:105], s[10:11], v[146:147]
	s_mov_b32 s35, 0xbf1a4643
	v_pk_add_f32 v[76:77], v[98:99], v[76:77]
	v_mov_b32_e32 v79, v145
	v_pk_mul_f32 v[150:151], v[128:129], s[34:35]
	s_mov_b32 s14, s35
	s_mov_b32 s15, s34
	;; [unrolled: 1-line block ×3, first 2 shown]
	v_pk_add_f32 v[76:77], v[78:79], v[76:77]
	v_pk_fma_f32 v[78:79], v[108:109], s[14:15], v[150:151] neg_lo:[0,0,1] neg_hi:[0,0,1]
	v_pk_fma_f32 v[148:149], v[108:109], s[14:15], v[150:151]
	s_mov_b32 s39, 0xbf7ba420
	v_mov_b32_e32 v79, v149
	v_pk_mul_f32 v[152:153], v[130:131], s[38:39]
	s_mov_b32 s16, s39
	s_mov_b32 s17, s38
	;; [unrolled: 1-line block ×4, first 2 shown]
	v_pk_add_f32 v[76:77], v[78:79], v[76:77]
	v_pk_fma_f32 v[78:79], v[110:111], s[16:17], v[152:153] neg_lo:[0,0,1] neg_hi:[0,0,1]
	v_pk_fma_f32 v[154:155], v[110:111], s[16:17], v[152:153]
	s_mov_b32 s40, 0x3f763a35
	s_mov_b32 s27, s46
	v_mov_b32_e32 v79, v155
	v_pk_mul_f32 v[158:159], v[132:133], s[46:47]
	s_mov_b32 s41, 0xbe8c1d8e
	v_pk_add_f32 v[76:77], v[78:79], v[76:77]
	v_pk_fma_f32 v[78:79], v[112:113], s[26:27], v[158:159] neg_lo:[0,0,1] neg_hi:[0,0,1]
	v_pk_fma_f32 v[156:157], v[112:113], s[26:27], v[158:159]
	v_pk_mul_f32 v[162:163], v[134:135], s[40:41]
	v_mov_b32_e32 v79, v157
	s_mov_b32 s22, s41
	s_mov_b32 s23, s40
	;; [unrolled: 1-line block ×3, first 2 shown]
	v_pk_add_f32 v[76:77], v[78:79], v[76:77]
	v_pk_fma_f32 v[78:79], v[114:115], s[22:23], v[162:163] neg_lo:[0,0,1] neg_hi:[0,0,1]
	v_pk_fma_f32 v[164:165], v[114:115], s[22:23], v[162:163]
	s_mov_b32 s43, 0x3ee437d1
	v_mov_b32_e32 v79, v165
	v_pk_mul_f32 v[166:167], v[136:137], s[42:43]
	s_mov_b32 s20, s43
	s_mov_b32 s21, s42
	;; [unrolled: 1-line block ×3, first 2 shown]
	v_pk_add_f32 v[76:77], v[78:79], v[76:77]
	v_pk_fma_f32 v[78:79], v[116:117], s[20:21], v[166:167] neg_lo:[0,0,1] neg_hi:[0,0,1]
	v_pk_fma_f32 v[168:169], v[116:117], s[20:21], v[166:167]
	s_mov_b32 s49, 0x3f6eb680
	v_mov_b32_e32 v79, v169
	v_pk_mul_f32 v[170:171], v[138:139], s[48:49]
	s_mov_b32 s36, s49
	s_mov_b32 s37, s48
	v_pk_add_f32 v[76:77], v[78:79], v[76:77]
	v_pk_fma_f32 v[78:79], v[118:119], s[36:37], v[170:171] neg_lo:[0,0,1] neg_hi:[0,0,1]
	v_pk_fma_f32 v[172:173], v[118:119], s[36:37], v[170:171]
	s_mov_b32 s60, 0xbf65296c
	v_mov_b32_e32 v79, v173
	v_pk_add_f32 v[76:77], v[78:79], v[76:77]
	s_mov_b32 s61, s43
	v_accvgpr_write_b32 a28, v76
	v_pk_mul_f32 v[174:175], v[72:73], s[60:61]
	s_mov_b32 s18, s43
	s_mov_b32 s19, s60
	v_accvgpr_write_b32 a29, v77
	v_pk_fma_f32 v[76:77], v[160:161], s[18:19], v[174:175] neg_lo:[0,0,1] neg_hi:[0,0,1]
	v_pk_fma_f32 v[176:177], v[160:161], s[18:19], v[174:175]
	v_pk_mul_f32 v[180:181], v[126:127], s[34:35]
	v_mov_b32_e32 v77, v177
	v_pk_fma_f32 v[78:79], v[104:105], s[14:15], v[180:181] neg_lo:[0,0,1] neg_hi:[0,0,1]
	v_pk_fma_f32 v[178:179], v[104:105], s[14:15], v[180:181]
	s_mov_b32 s24, 0x3e3c28d5
	s_mov_b32 s25, s39
	v_pk_add_f32 v[76:77], v[98:99], v[76:77]
	v_mov_b32_e32 v79, v179
	v_pk_mul_f32 v[182:183], v[128:129], s[24:25]
	s_mov_b32 s70, s39
	s_mov_b32 s71, s24
	v_pk_add_f32 v[76:77], v[78:79], v[76:77]
	v_pk_fma_f32 v[78:79], v[108:109], s[70:71], v[182:183] neg_lo:[0,0,1] neg_hi:[0,0,1]
	v_pk_fma_f32 v[184:185], v[108:109], s[70:71], v[182:183]
	v_pk_mul_f32 v[188:189], v[130:131], s[40:41]
	v_mov_b32_e32 v79, v185
	v_pk_add_f32 v[76:77], v[78:79], v[76:77]
	v_pk_fma_f32 v[78:79], v[110:111], s[22:23], v[188:189] neg_lo:[0,0,1] neg_hi:[0,0,1]
	v_pk_fma_f32 v[186:187], v[110:111], s[22:23], v[188:189]
	s_mov_b32 s56, 0x3f2c7751
	s_mov_b32 s57, s51
	v_mov_b32_e32 v79, v187
	v_pk_mul_f32 v[190:191], v[132:133], s[56:57]
	s_mov_b32 s30, s51
	s_mov_b32 s31, s56
	v_pk_add_f32 v[76:77], v[78:79], v[76:77]
	v_pk_fma_f32 v[78:79], v[112:113], s[30:31], v[190:191] neg_lo:[0,0,1] neg_hi:[0,0,1]
	v_pk_fma_f32 v[192:193], v[112:113], s[30:31], v[190:191]
	s_mov_b32 s62, 0xbeb8f4ab
	s_mov_b32 s63, s49
	v_mov_b32_e32 v79, v193
	v_pk_mul_f32 v[194:195], v[134:135], s[62:63]
	s_mov_b32 s28, s49
	s_mov_b32 s29, s62
	v_pk_add_f32 v[76:77], v[78:79], v[76:77]
	v_pk_fma_f32 v[78:79], v[114:115], s[28:29], v[194:195] neg_lo:[0,0,1] neg_hi:[0,0,1]
	v_pk_fma_f32 v[196:197], v[114:115], s[28:29], v[194:195]
	v_pk_mul_f32 v[200:201], v[136:137], s[44:45]
	v_mov_b32_e32 v79, v197
	v_pk_add_f32 v[76:77], v[78:79], v[76:77]
	v_pk_fma_f32 v[78:79], v[116:117], s[10:11], v[200:201] neg_lo:[0,0,1] neg_hi:[0,0,1]
	v_pk_fma_f32 v[198:199], v[116:117], s[10:11], v[200:201]
	s_mov_b32 s58, 0xbf06c442
	s_mov_b32 s59, s26
	v_mov_b32_e32 v79, v199
	v_pk_mul_f32 v[210:211], v[138:139], s[58:59]
	s_mov_b32 s24, s26
	s_mov_b32 s25, s58
	v_pk_add_f32 v[76:77], v[78:79], v[76:77]
	v_pk_fma_f32 v[78:79], v[118:119], s[24:25], v[210:211] neg_lo:[0,0,1] neg_hi:[0,0,1]
	v_pk_fma_f32 v[216:217], v[118:119], s[24:25], v[210:211]
	v_pk_mul_f32 v[204:205], v[72:73], s[44:45]
	v_mov_b32_e32 v79, v217
	v_pk_add_f32 v[76:77], v[78:79], v[76:77]
	v_pk_fma_f32 v[72:73], v[160:161], s[10:11], v[204:205] neg_lo:[0,0,1] neg_hi:[0,0,1]
	v_accvgpr_write_b32 a30, v76
	v_pk_fma_f32 v[202:203], v[160:161], s[10:11], v[204:205]
	v_pk_mul_f32 v[208:209], v[126:127], s[38:39]
	v_accvgpr_write_b32 a31, v77
	v_mov_b32_e32 v73, v203
	v_pk_fma_f32 v[76:77], v[104:105], s[16:17], v[208:209] neg_lo:[0,0,1] neg_hi:[0,0,1]
	v_pk_fma_f32 v[206:207], v[104:105], s[16:17], v[208:209]
	v_pk_add_f32 v[72:73], v[98:99], v[72:73]
	v_mov_b32_e32 v77, v207
	v_pk_mul_f32 v[214:215], v[128:129], s[40:41]
	v_pk_add_f32 v[72:73], v[76:77], v[72:73]
	v_pk_fma_f32 v[76:77], v[108:109], s[22:23], v[214:215] neg_lo:[0,0,1] neg_hi:[0,0,1]
	v_pk_fma_f32 v[212:213], v[108:109], s[22:23], v[214:215]
	v_pk_mul_f32 v[220:221], v[130:131], s[48:49]
	v_mov_b32_e32 v77, v213
	v_pk_add_f32 v[72:73], v[76:77], v[72:73]
	v_pk_fma_f32 v[76:77], v[110:111], s[36:37], v[220:221] neg_lo:[0,0,1] neg_hi:[0,0,1]
	v_pk_fma_f32 v[218:219], v[110:111], s[36:37], v[220:221]
	v_pk_mul_f32 v[224:225], v[132:133], s[60:61]
	v_mov_b32_e32 v77, v219
	;; [unrolled: 5-line block ×3, first 2 shown]
	v_pk_add_f32 v[72:73], v[76:77], v[72:73]
	v_pk_fma_f32 v[76:77], v[114:115], s[24:25], v[228:229] neg_lo:[0,0,1] neg_hi:[0,0,1]
	v_pk_fma_f32 v[226:227], v[114:115], s[24:25], v[228:229]
	s_mov_b32 s68, 0x3f4c4adb
	s_mov_b32 s69, s35
	v_mov_b32_e32 v77, v227
	v_pk_mul_f32 v[230:231], v[136:137], s[68:69]
	s_mov_b32 s52, s35
	s_mov_b32 s53, s68
	v_pk_add_f32 v[72:73], v[76:77], v[72:73]
	v_pk_fma_f32 v[76:77], v[116:117], s[52:53], v[230:231] neg_lo:[0,0,1] neg_hi:[0,0,1]
	v_pk_fma_f32 v[232:233], v[116:117], s[52:53], v[230:231]
	v_pk_mul_f32 v[236:237], v[138:139], s[56:57]
	v_mov_b32_e32 v77, v233
	v_pk_add_f32 v[72:73], v[76:77], v[72:73]
	v_pk_fma_f32 v[76:77], v[118:119], s[30:31], v[236:237] neg_lo:[0,0,1] neg_hi:[0,0,1]
	v_pk_fma_f32 v[234:235], v[118:119], s[30:31], v[236:237]
	s_mov_b32 s64, 0xbf763a35
	v_mov_b32_e32 v77, v235
	v_pk_add_f32 v[72:73], v[76:77], v[72:73]
	s_mov_b32 s54, s41
	v_accvgpr_write_b32 a32, v72
	v_accvgpr_write_b32 a33, v73
	v_pk_mul_f32 v[72:73], v[124:125], s[64:65] op_sel_hi:[1,0]
	v_pk_mul_f32 v[80:81], v[126:127], s[46:47]
	v_pk_fma_f32 v[102:103], v[122:123], s[54:55], v[72:73] op_sel:[0,0,1] op_sel_hi:[1,0,0] neg_lo:[0,0,1] neg_hi:[0,0,1]
	v_pk_fma_f32 v[238:239], v[122:123], s[54:55], v[72:73] op_sel:[0,0,1] op_sel_hi:[1,0,0]
	v_mov_b32_e32 v72, v102
	v_mov_b32_e32 v73, v239
	v_pk_fma_f32 v[76:77], v[104:105], s[26:27], v[80:81] neg_lo:[0,0,1] neg_hi:[0,0,1]
	v_pk_fma_f32 v[240:241], v[104:105], s[26:27], v[80:81]
	v_pk_add_f32 v[72:73], v[98:99], v[72:73]
	v_mov_b32_e32 v77, v241
	v_pk_mul_f32 v[244:245], v[128:129], s[56:57]
	v_pk_add_f32 v[72:73], v[76:77], v[72:73]
	v_pk_fma_f32 v[76:77], v[108:109], s[30:31], v[244:245] neg_lo:[0,0,1] neg_hi:[0,0,1]
	v_pk_fma_f32 v[242:243], v[108:109], s[30:31], v[244:245]
	v_pk_mul_f32 v[248:249], v[130:131], s[60:61]
	v_mov_b32_e32 v77, v243
	v_pk_add_f32 v[72:73], v[76:77], v[72:73]
	v_pk_fma_f32 v[76:77], v[110:111], s[18:19], v[248:249] neg_lo:[0,0,1] neg_hi:[0,0,1]
	v_pk_fma_f32 v[246:247], v[110:111], s[18:19], v[248:249]
	v_pk_mul_f32 v[252:253], v[132:133], s[38:39]
	v_mov_b32_e32 v77, v247
	v_pk_add_f32 v[72:73], v[76:77], v[72:73]
	v_pk_fma_f32 v[76:77], v[112:113], s[16:17], v[252:253] neg_lo:[0,0,1] neg_hi:[0,0,1]
	v_pk_fma_f32 v[250:251], v[112:113], s[16:17], v[252:253]
	s_mov_b32 s66, 0x3f7ee86f
	v_mov_b32_e32 v77, v251
	s_mov_b32 s67, s45
	v_pk_add_f32 v[76:77], v[76:77], v[72:73]
	s_mov_b32 s54, s45
	s_mov_b32 s55, s66
	v_pk_mul_f32 v[72:73], v[134:135], s[66:67]
	s_nop 0
	v_pk_fma_f32 v[78:79], v[114:115], s[54:55], v[72:73] neg_lo:[0,0,1] neg_hi:[0,0,1]
	v_pk_fma_f32 v[254:255], v[114:115], s[54:55], v[72:73]
	s_barrier
	v_mov_b32_e32 v79, v255
	v_pk_add_f32 v[100:101], v[78:79], v[76:77]
	v_pk_mul_f32 v[76:77], v[136:137], s[62:63]
	s_nop 0
	v_pk_fma_f32 v[120:121], v[116:117], s[28:29], v[76:77] neg_lo:[0,0,1] neg_hi:[0,0,1]
	v_pk_fma_f32 v[78:79], v[116:117], s[28:29], v[76:77]
	s_nop 0
	v_mov_b32_e32 v121, v79
	v_pk_add_f32 v[106:107], v[120:121], v[100:101]
	v_pk_mul_f32 v[120:121], v[138:139], s[34:35]
	s_nop 0
	v_pk_fma_f32 v[100:101], v[118:119], s[14:15], v[120:121] neg_lo:[0,0,1] neg_hi:[0,0,1]
	v_pk_fma_f32 v[86:87], v[118:119], s[14:15], v[120:121]
	s_nop 0
	v_mov_b32_e32 v101, v87
	v_pk_add_f32 v[88:89], v[100:101], v[106:107]
	s_nop 0
	v_accvgpr_write_b32 a34, v88
	v_accvgpr_write_b32 a35, v89
	s_and_saveexec_b64 s[46:47], vcc
	s_cbranch_execz .LBB0_17
; %bb.16:
	v_pk_mul_f32 v[88:89], v[104:105], s[10:11]
	v_pk_add_f32 v[48:49], v[48:49], v[98:99]
	v_accvgpr_write_b32 a66, v88
	v_accvgpr_write_b32 a67, v89
	v_pk_mul_f32 v[88:89], v[108:109], s[14:15]
	v_pk_add_f32 v[48:49], v[50:51], v[48:49]
	v_accvgpr_write_b32 a64, v88
	v_accvgpr_write_b32 a65, v89
	;; [unrolled: 4-line block ×14, first 2 shown]
	s_mov_b32 s70, s49
	v_pk_mul_f32 v[88:89], v[124:125], s[62:63] op_sel_hi:[1,0]
	v_pk_add_f32 v[24:25], v[24:25], v[44:45]
	v_pk_fma_f32 v[46:47], v[122:123], s[70:71], v[88:89] op_sel:[0,0,1] op_sel_hi:[1,0,0]
	v_pk_add_f32 v[44:45], v[26:27], v[24:25]
	v_pk_fma_f32 v[26:27], v[122:123], s[70:71], v[88:89] op_sel:[0,0,1] op_sel_hi:[1,0,0] neg_lo:[0,0,1] neg_hi:[0,0,1]
	v_pk_mul_f32 v[88:89], v[126:127], s[50:51]
	v_mov_b32_e32 v75, v47
	v_mov_b32_e32 v47, v27
	v_pk_fma_f32 v[24:25], v[104:105], s[2:3], v[88:89]
	v_pk_fma_f32 v[50:51], v[104:105], s[2:3], v[88:89] neg_lo:[1,0,0] neg_hi:[1,0,0]
	v_pk_add_f32 v[48:49], v[98:99], v[46:47]
	v_mov_b32_e32 v50, v24
	v_pk_add_f32 v[52:53], v[50:51], v[48:49]
	v_pk_mul_f32 v[50:51], v[128:129], s[60:61]
	v_accvgpr_write_b32 a27, v25
	v_pk_fma_f32 v[24:25], v[108:109], s[18:19], v[50:51]
	v_pk_fma_f32 v[54:55], v[108:109], s[18:19], v[50:51] neg_lo:[1,0,0] neg_hi:[1,0,0]
	v_accvgpr_write_b32 a37, v25
	v_mov_b32_e32 v54, v24
	v_pk_add_f32 v[56:57], v[54:55], v[52:53]
	v_pk_mul_f32 v[54:55], v[130:131], s[44:45]
	s_mov_b32 s65, s41
	v_pk_fma_f32 v[24:25], v[110:111], s[10:11], v[54:55]
	v_pk_fma_f32 v[58:59], v[110:111], s[10:11], v[54:55] neg_lo:[1,0,0] neg_hi:[1,0,0]
	s_mov_b32 s60, s41
	v_mov_b32_e32 v58, v24
	v_pk_add_f32 v[60:61], v[58:59], v[56:57]
	s_mov_b32 s61, s64
	v_pk_mul_f32 v[58:59], v[132:133], s[64:65]
	v_accvgpr_write_b32 a8, v90
	v_pk_fma_f32 v[56:57], v[112:113], s[60:61], v[58:59]
	v_pk_fma_f32 v[62:63], v[112:113], s[60:61], v[58:59] neg_lo:[1,0,0] neg_hi:[1,0,0]
	v_accvgpr_write_b32 a9, v91
	v_mov_b32_e32 v62, v56
	v_pk_add_f32 v[64:65], v[62:63], v[60:61]
	v_pk_mul_f32 v[62:63], v[134:135], s[34:35]
	v_accvgpr_write_b32 a63, v25
	v_pk_fma_f32 v[60:61], v[114:115], s[14:15], v[62:63]
	v_pk_fma_f32 v[66:67], v[114:115], s[14:15], v[62:63] neg_lo:[1,0,0] neg_hi:[1,0,0]
	v_accvgpr_read_b32 v24, a1
	v_mov_b32_e32 v66, v60
	v_pk_add_f32 v[68:69], v[66:67], v[64:65]
	v_pk_mul_f32 v[66:67], v[136:137], s[58:59]
	v_accvgpr_read_b32 v25, a7
	v_pk_fma_f32 v[64:65], v[116:117], s[24:25], v[66:67]
	v_pk_fma_f32 v[70:71], v[116:117], s[24:25], v[66:67] neg_lo:[1,0,0] neg_hi:[1,0,0]
	v_pk_mul_f32 v[106:107], v[160:161], s[2:3]
	v_mov_b32_e32 v70, v64
	v_pk_add_f32 v[90:91], v[70:71], v[68:69]
	v_pk_mul_f32 v[70:71], v[138:139], s[38:39]
	v_accvgpr_read_b32 v52, a60
	v_pk_fma_f32 v[48:49], v[118:119], s[16:17], v[70:71]
	v_pk_fma_f32 v[68:69], v[118:119], s[16:17], v[70:71] neg_lo:[1,0,0] neg_hi:[1,0,0]
	v_pk_add_f32 v[106:107], v[142:143], v[106:107] neg_lo:[0,1] neg_hi:[0,1]
	v_mov_b32_e32 v68, v48
	v_lshl_add_u32 v48, v25, 3, v24
	v_accvgpr_read_b32 v24, a66
	v_accvgpr_read_b32 v25, a67
	v_accvgpr_read_b32 v46, a64
	v_accvgpr_read_b32 v53, a61
	v_mov_b32_e32 v141, v107
	v_pk_add_f32 v[146:147], v[146:147], v[24:25] neg_lo:[0,1] neg_hi:[0,1]
	v_accvgpr_read_b32 v47, a65
	v_pk_add_f32 v[152:153], v[152:153], v[52:53] neg_lo:[0,1] neg_hi:[0,1]
	v_mov_b32_e32 v145, v147
	v_pk_add_f32 v[140:141], v[98:99], v[140:141]
	v_pk_add_f32 v[150:151], v[150:151], v[46:47] neg_lo:[0,1] neg_hi:[0,1]
	v_mov_b32_e32 v155, v153
	v_accvgpr_read_b32 v153, a59
	v_pk_add_f32 v[140:141], v[144:145], v[140:141]
	v_mov_b32_e32 v149, v151
	v_accvgpr_read_b32 v152, a58
	v_pk_add_f32 v[140:141], v[148:149], v[140:141]
	v_pk_add_f32 v[152:153], v[158:159], v[152:153] neg_lo:[0,1] neg_hi:[0,1]
	v_pk_add_f32 v[140:141], v[154:155], v[140:141]
	v_mov_b32_e32 v157, v153
	v_accvgpr_read_b32 v153, a57
	v_accvgpr_read_b32 v155, a49
	;; [unrolled: 1-line block ×4, first 2 shown]
	v_pk_add_f32 v[152:153], v[162:163], v[152:153] neg_lo:[0,1] neg_hi:[0,1]
	v_pk_add_f32 v[154:155], v[180:181], v[154:155] neg_lo:[0,1] neg_hi:[0,1]
	v_mov_b32_e32 v165, v153
	v_accvgpr_read_b32 v153, a55
	v_mov_b32_e32 v179, v155
	v_accvgpr_read_b32 v155, a47
	v_accvgpr_read_b32 v152, a54
	v_accvgpr_read_b32 v154, a46
	v_pk_add_f32 v[152:153], v[166:167], v[152:153] neg_lo:[0,1] neg_hi:[0,1]
	v_pk_add_f32 v[154:155], v[182:183], v[154:155] neg_lo:[0,1] neg_hi:[0,1]
	v_mov_b32_e32 v169, v153
	v_accvgpr_read_b32 v153, a53
	v_mov_b32_e32 v185, v155
	v_accvgpr_read_b32 v155, a45
	v_accvgpr_read_b32 v152, a52
	v_accvgpr_read_b32 v154, a44
	;; [unrolled: 8-line block ×3, first 2 shown]
	v_pk_add_f32 v[152:153], v[174:175], v[152:153] neg_lo:[0,1] neg_hi:[0,1]
	v_pk_add_f32 v[154:155], v[190:191], v[154:155] neg_lo:[0,1] neg_hi:[0,1]
	v_mov_b32_e32 v177, v153
	v_mov_b32_e32 v193, v155
	v_accvgpr_read_b32 v155, a41
	v_pk_add_f32 v[152:153], v[98:99], v[176:177]
	v_accvgpr_read_b32 v154, a40
	v_pk_add_f32 v[68:69], v[68:69], v[90:91]
	v_pk_add_f32 v[152:153], v[178:179], v[152:153]
	v_pk_add_f32 v[154:155], v[194:195], v[154:155] neg_lo:[0,1] neg_hi:[0,1]
	ds_write2_b64 v48, v[44:45], v[68:69] offset1:1
	v_pk_mul_f32 v[68:69], v[108:109], s[22:23]
	v_pk_add_f32 v[152:153], v[184:185], v[152:153]
	v_mov_b32_e32 v197, v155
	v_accvgpr_read_b32 v155, a39
	v_pk_mul_f32 v[100:101], v[104:105], s[26:27]
	v_mov_b32_e32 v239, v103
	v_pk_mul_f32 v[102:103], v[110:111], s[36:37]
	v_pk_add_f32 v[152:153], v[186:187], v[152:153]
	v_accvgpr_read_b32 v154, a38
	v_pk_add_f32 v[68:69], v[214:215], v[68:69] neg_lo:[0,1] neg_hi:[0,1]
	v_pk_mul_f32 v[90:91], v[118:119], s[24:25]
	v_pk_add_f32 v[80:81], v[80:81], v[100:101] neg_lo:[0,1] neg_hi:[0,1]
	v_pk_mul_f32 v[100:101], v[112:113], s[18:19]
	v_pk_add_f32 v[140:141], v[156:157], v[140:141]
	v_pk_add_f32 v[152:153], v[192:193], v[152:153]
	v_pk_add_f32 v[154:155], v[200:201], v[154:155] neg_lo:[0,1] neg_hi:[0,1]
	v_mov_b32_e32 v213, v69
	v_pk_add_f32 v[68:69], v[220:221], v[102:103] neg_lo:[0,1] neg_hi:[0,1]
	v_mov_b32_e32 v241, v81
	v_pk_mul_f32 v[80:81], v[114:115], s[24:25]
	v_pk_add_f32 v[140:141], v[164:165], v[140:141]
	v_pk_add_f32 v[152:153], v[196:197], v[152:153]
	v_mov_b32_e32 v199, v155
	v_pk_add_f32 v[90:91], v[210:211], v[90:91] neg_lo:[0,1] neg_hi:[0,1]
	v_mov_b32_e32 v219, v69
	v_pk_add_f32 v[68:69], v[224:225], v[100:101] neg_lo:[0,1] neg_hi:[0,1]
	v_pk_mul_f32 v[142:143], v[116:117], s[52:53]
	v_pk_add_f32 v[140:141], v[168:169], v[140:141]
	v_pk_add_f32 v[152:153], v[198:199], v[152:153]
	v_mov_b32_e32 v217, v91
	v_mov_b32_e32 v223, v69
	v_pk_add_f32 v[68:69], v[228:229], v[80:81] neg_lo:[0,1] neg_hi:[0,1]
	v_pk_mul_f32 v[160:161], v[160:161], s[10:11]
	v_pk_mul_f32 v[106:107], v[118:119], s[30:31]
	v_pk_add_f32 v[140:141], v[172:173], v[140:141]
	v_pk_add_f32 v[90:91], v[216:217], v[152:153]
	v_mov_b32_e32 v227, v69
	v_pk_add_f32 v[68:69], v[230:231], v[142:143] neg_lo:[0,1] neg_hi:[0,1]
	v_pk_mul_f32 v[44:45], v[104:105], s[16:17]
	v_pk_mul_f32 v[24:25], v[108:109], s[30:31]
	ds_write2_b64 v48, v[140:141], v[90:91] offset0:2 offset1:3
	v_pk_add_f32 v[90:91], v[204:205], v[160:161] neg_lo:[0,1] neg_hi:[0,1]
	v_mov_b32_e32 v233, v69
	v_pk_add_f32 v[68:69], v[236:237], v[106:107] neg_lo:[0,1] neg_hi:[0,1]
	v_mov_b32_e32 v203, v91
	;; [unrolled: 2-line block ×3, first 2 shown]
	v_pk_add_f32 v[68:69], v[98:99], v[238:239]
	v_pk_add_f32 v[24:25], v[244:245], v[24:25] neg_lo:[0,1] neg_hi:[0,1]
	v_pk_mul_f32 v[146:147], v[110:111], s[18:19]
	v_pk_add_f32 v[90:91], v[98:99], v[202:203]
	v_mov_b32_e32 v207, v45
	v_pk_add_f32 v[68:69], v[240:241], v[68:69]
	v_mov_b32_e32 v243, v25
	v_pk_mul_f32 v[144:145], v[112:113], s[16:17]
	v_pk_add_f32 v[44:45], v[206:207], v[90:91]
	v_pk_add_f32 v[24:25], v[242:243], v[68:69]
	v_pk_add_f32 v[68:69], v[248:249], v[146:147] neg_lo:[0,1] neg_hi:[0,1]
	v_pk_mul_f32 v[46:47], v[114:115], s[54:55]
	v_pk_add_f32 v[44:45], v[212:213], v[44:45]
	v_mov_b32_e32 v247, v69
	v_pk_add_f32 v[68:69], v[252:253], v[144:145] neg_lo:[0,1] neg_hi:[0,1]
	v_pk_mul_f32 v[150:151], v[116:117], s[28:29]
	v_pk_add_f32 v[44:45], v[218:219], v[44:45]
	v_pk_add_f32 v[24:25], v[246:247], v[24:25]
	v_mov_b32_e32 v251, v69
	v_pk_add_f32 v[46:47], v[72:73], v[46:47] neg_lo:[0,1] neg_hi:[0,1]
	v_pk_mul_f32 v[148:149], v[118:119], s[14:15]
	v_pk_add_f32 v[44:45], v[222:223], v[44:45]
	v_pk_add_f32 v[24:25], v[250:251], v[24:25]
	v_mov_b32_e32 v255, v47
	v_pk_add_f32 v[46:47], v[76:77], v[150:151] neg_lo:[0,1] neg_hi:[0,1]
	v_pk_add_f32 v[44:45], v[226:227], v[44:45]
	v_pk_add_f32 v[24:25], v[254:255], v[24:25]
	v_mov_b32_e32 v79, v47
	v_pk_add_f32 v[46:47], v[120:121], v[148:149] neg_lo:[0,1] neg_hi:[0,1]
	v_pk_add_f32 v[44:45], v[232:233], v[44:45]
	v_pk_add_f32 v[24:25], v[78:79], v[24:25]
	v_mov_b32_e32 v87, v47
	v_pk_add_f32 v[44:45], v[234:235], v[44:45]
	v_pk_add_f32 v[24:25], v[86:87], v[24:25]
	ds_write2_b64 v48, v[44:45], v[24:25] offset0:4 offset1:5
	s_mov_b32 s70, s35
	v_pk_mul_f32 v[24:25], v[124:125], s[34:35] op_sel_hi:[1,0]
	v_pk_mul_f32 v[44:45], v[126:127], s[40:41]
	v_pk_fma_f32 v[86:87], v[122:123], s[70:71], v[24:25] op_sel:[0,0,1] op_sel_hi:[1,0,0]
	v_pk_fma_f32 v[24:25], v[122:123], s[70:71], v[24:25] op_sel:[0,0,1] op_sel_hi:[1,0,0] neg_lo:[0,0,1] neg_hi:[0,0,1]
	v_mov_b32_e32 v90, v86
	v_mov_b32_e32 v91, v25
	v_pk_fma_f32 v[100:101], v[104:105], s[22:23], v[44:45]
	v_pk_fma_f32 v[102:103], v[104:105], s[22:23], v[44:45] neg_lo:[1,0,0] neg_hi:[1,0,0]
	v_pk_mul_f32 v[46:47], v[128:129], s[62:63]
	v_pk_add_f32 v[90:91], v[98:99], v[90:91]
	v_mov_b32_e32 v102, v100
	v_pk_add_f32 v[90:91], v[102:103], v[90:91]
	v_pk_fma_f32 v[102:103], v[108:109], s[28:29], v[46:47]
	v_pk_fma_f32 v[106:107], v[108:109], s[28:29], v[46:47] neg_lo:[1,0,0] neg_hi:[1,0,0]
	v_pk_mul_f32 v[68:69], v[130:131], s[58:59]
	v_mov_b32_e32 v106, v102
	v_pk_add_f32 v[90:91], v[106:107], v[90:91]
	v_pk_fma_f32 v[106:107], v[110:111], s[24:25], v[68:69]
	v_pk_fma_f32 v[120:121], v[110:111], s[24:25], v[68:69] neg_lo:[1,0,0] neg_hi:[1,0,0]
	v_pk_mul_f32 v[72:73], v[132:133], s[66:67]
	;; [unrolled: 5-line block ×6, first 2 shown]
	v_mov_b32_e32 v146, v144
	v_pk_add_f32 v[90:91], v[146:147], v[90:91]
	v_pk_mul_f32 v[146:147], v[124:125], s[58:59] op_sel_hi:[1,0]
	v_pk_fma_f32 v[166:167], v[104:105], s[20:21], v[148:149]
	v_pk_fma_f32 v[162:163], v[122:123], s[26:27], v[146:147] op_sel:[0,0,1] op_sel_hi:[1,0,0]
	v_pk_fma_f32 v[146:147], v[122:123], s[26:27], v[146:147] op_sel:[0,0,1] op_sel_hi:[1,0,0] neg_lo:[0,0,1] neg_hi:[0,0,1]
	v_mov_b32_e32 v164, v162
	v_mov_b32_e32 v165, v147
	v_pk_fma_f32 v[168:169], v[104:105], s[20:21], v[148:149] neg_lo:[1,0,0] neg_hi:[1,0,0]
	v_pk_mul_f32 v[150:151], v[128:129], s[44:45]
	v_pk_add_f32 v[164:165], v[98:99], v[164:165]
	v_mov_b32_e32 v168, v166
	v_pk_add_f32 v[164:165], v[168:169], v[164:165]
	v_pk_fma_f32 v[168:169], v[108:109], s[10:11], v[150:151]
	v_pk_fma_f32 v[170:171], v[108:109], s[10:11], v[150:151] neg_lo:[1,0,0] neg_hi:[1,0,0]
	v_pk_mul_f32 v[152:153], v[130:131], s[68:69]
	v_mov_b32_e32 v170, v168
	v_pk_add_f32 v[164:165], v[170:171], v[164:165]
	v_pk_fma_f32 v[170:171], v[110:111], s[52:53], v[152:153]
	v_pk_fma_f32 v[172:173], v[110:111], s[52:53], v[152:153] neg_lo:[1,0,0] neg_hi:[1,0,0]
	v_pk_mul_f32 v[154:155], v[132:133], s[62:63]
	;; [unrolled: 5-line block ×5, first 2 shown]
	v_mov_b32_e32 v178, v176
	v_pk_add_f32 v[164:165], v[178:179], v[164:165]
	v_pk_fma_f32 v[178:179], v[118:119], s[60:61], v[160:161]
	v_pk_fma_f32 v[180:181], v[118:119], s[60:61], v[160:161] neg_lo:[1,0,0] neg_hi:[1,0,0]
	s_mov_b32 s26, s39
	v_mov_b32_e32 v180, v178
	v_pk_add_f32 v[164:165], v[180:181], v[164:165]
	ds_write2_b64 v48, v[90:91], v[164:165] offset0:6 offset1:7
	v_pk_mul_f32 v[90:91], v[124:125], s[38:39] op_sel_hi:[1,0]
	v_pk_mul_f32 v[124:125], v[126:127], s[48:49]
	v_pk_mul_f32 v[126:127], v[128:129], s[58:59]
	v_pk_mul_f32 v[128:129], v[130:131], s[56:57]
	v_pk_mul_f32 v[130:131], v[132:133], s[34:35]
	v_pk_mul_f32 v[132:133], v[134:135], s[42:43]
	v_pk_mul_f32 v[134:135], v[136:137], s[64:65]
	v_pk_mul_f32 v[136:137], v[138:139], s[66:67]
	v_pk_fma_f32 v[138:139], v[122:123], s[26:27], v[90:91] op_sel:[0,0,1] op_sel_hi:[1,0,0]
	v_pk_fma_f32 v[90:91], v[122:123], s[26:27], v[90:91] op_sel:[0,0,1] op_sel_hi:[1,0,0] neg_lo:[0,0,1] neg_hi:[0,0,1]
	v_mov_b32_e32 v122, v138
	v_mov_b32_e32 v123, v91
	v_pk_fma_f32 v[164:165], v[104:105], s[36:37], v[124:125]
	v_pk_fma_f32 v[180:181], v[104:105], s[36:37], v[124:125] neg_lo:[1,0,0] neg_hi:[1,0,0]
	v_mov_b32_e32 v91, v139
	v_pk_fma_f32 v[124:125], v[104:105], s[36:37], v[124:125] neg_lo:[0,0,1] neg_hi:[0,0,1]
	v_pk_add_f32 v[122:123], v[98:99], v[122:123]
	v_mov_b32_e32 v180, v164
	v_pk_add_f32 v[90:91], v[98:99], v[90:91]
	v_mov_b32_e32 v125, v165
	v_pk_add_f32 v[122:123], v[180:181], v[122:123]
	v_pk_fma_f32 v[180:181], v[108:109], s[24:25], v[126:127]
	v_pk_fma_f32 v[182:183], v[108:109], s[24:25], v[126:127] neg_lo:[1,0,0] neg_hi:[1,0,0]
	v_pk_add_f32 v[90:91], v[124:125], v[90:91]
	v_pk_fma_f32 v[124:125], v[108:109], s[24:25], v[126:127] neg_lo:[0,0,1] neg_hi:[0,0,1]
	v_mov_b32_e32 v182, v180
	v_mov_b32_e32 v125, v181
	v_pk_add_f32 v[122:123], v[182:183], v[122:123]
	v_pk_fma_f32 v[182:183], v[110:111], s[30:31], v[128:129]
	v_pk_fma_f32 v[184:185], v[110:111], s[30:31], v[128:129] neg_lo:[1,0,0] neg_hi:[1,0,0]
	v_pk_add_f32 v[90:91], v[124:125], v[90:91]
	v_pk_fma_f32 v[124:125], v[110:111], s[30:31], v[128:129] neg_lo:[0,0,1] neg_hi:[0,0,1]
	v_mov_b32_e32 v184, v182
	v_mov_b32_e32 v125, v183
	v_pk_add_f32 v[122:123], v[184:185], v[122:123]
	v_pk_fma_f32 v[184:185], v[112:113], s[14:15], v[130:131]
	v_pk_fma_f32 v[186:187], v[112:113], s[14:15], v[130:131] neg_lo:[1,0,0] neg_hi:[1,0,0]
	v_pk_add_f32 v[90:91], v[124:125], v[90:91]
	v_pk_fma_f32 v[124:125], v[112:113], s[14:15], v[130:131] neg_lo:[0,0,1] neg_hi:[0,0,1]
	v_mov_b32_e32 v186, v184
	v_mov_b32_e32 v125, v185
	v_pk_add_f32 v[122:123], v[186:187], v[122:123]
	v_pk_fma_f32 v[186:187], v[114:115], s[20:21], v[132:133]
	v_pk_fma_f32 v[188:189], v[114:115], s[20:21], v[132:133] neg_lo:[1,0,0] neg_hi:[1,0,0]
	v_pk_add_f32 v[90:91], v[124:125], v[90:91]
	v_pk_fma_f32 v[124:125], v[114:115], s[20:21], v[132:133] neg_lo:[0,0,1] neg_hi:[0,0,1]
	v_mov_b32_e32 v188, v186
	v_mov_b32_e32 v125, v187
	v_pk_add_f32 v[122:123], v[188:189], v[122:123]
	v_pk_fma_f32 v[188:189], v[116:117], s[60:61], v[134:135]
	v_pk_fma_f32 v[190:191], v[116:117], s[60:61], v[134:135] neg_lo:[1,0,0] neg_hi:[1,0,0]
	v_pk_add_f32 v[90:91], v[124:125], v[90:91]
	v_pk_fma_f32 v[124:125], v[116:117], s[60:61], v[134:135] neg_lo:[0,0,1] neg_hi:[0,0,1]
	v_mov_b32_e32 v190, v188
	v_mov_b32_e32 v125, v189
	v_pk_add_f32 v[122:123], v[190:191], v[122:123]
	v_pk_fma_f32 v[190:191], v[118:119], s[54:55], v[136:137]
	v_pk_fma_f32 v[192:193], v[118:119], s[54:55], v[136:137] neg_lo:[1,0,0] neg_hi:[1,0,0]
	v_pk_add_f32 v[90:91], v[124:125], v[90:91]
	v_pk_fma_f32 v[124:125], v[118:119], s[54:55], v[136:137] neg_lo:[0,0,1] neg_hi:[0,0,1]
	v_mov_b32_e32 v192, v190
	v_mov_b32_e32 v125, v191
	v_pk_add_f32 v[122:123], v[192:193], v[122:123]
	v_pk_add_f32 v[90:91], v[124:125], v[90:91]
	ds_write2_b64 v48, v[122:123], v[90:91] offset0:8 offset1:9
	v_mov_b32_e32 v147, v163
	v_pk_fma_f32 v[122:123], v[104:105], s[20:21], v[148:149] neg_lo:[0,0,1] neg_hi:[0,0,1]
	v_mov_b32_e32 v25, v87
	v_pk_fma_f32 v[44:45], v[104:105], s[22:23], v[44:45] neg_lo:[0,0,1] neg_hi:[0,0,1]
	v_pk_add_f32 v[90:91], v[98:99], v[146:147]
	v_mov_b32_e32 v123, v167
	v_pk_add_f32 v[24:25], v[98:99], v[24:25]
	v_mov_b32_e32 v45, v101
	v_pk_add_f32 v[90:91], v[122:123], v[90:91]
	v_pk_fma_f32 v[122:123], v[108:109], s[10:11], v[150:151] neg_lo:[0,0,1] neg_hi:[0,0,1]
	v_pk_add_f32 v[24:25], v[44:45], v[24:25]
	v_pk_fma_f32 v[44:45], v[108:109], s[28:29], v[46:47] neg_lo:[0,0,1] neg_hi:[0,0,1]
	v_mov_b32_e32 v123, v169
	v_mov_b32_e32 v45, v103
	v_pk_add_f32 v[90:91], v[122:123], v[90:91]
	v_pk_fma_f32 v[122:123], v[110:111], s[52:53], v[152:153] neg_lo:[0,0,1] neg_hi:[0,0,1]
	v_pk_add_f32 v[24:25], v[44:45], v[24:25]
	v_pk_fma_f32 v[44:45], v[110:111], s[24:25], v[68:69] neg_lo:[0,0,1] neg_hi:[0,0,1]
	v_mov_b32_e32 v123, v171
	;; [unrolled: 6-line block ×6, first 2 shown]
	v_mov_b32_e32 v45, v145
	v_pk_add_f32 v[90:91], v[122:123], v[90:91]
	v_pk_add_f32 v[24:25], v[44:45], v[24:25]
	ds_write2_b64 v48, v[90:91], v[24:25] offset0:10 offset1:11
	v_accvgpr_read_b32 v24, a32
	v_accvgpr_read_b32 v45, a35
	;; [unrolled: 1-line block ×4, first 2 shown]
	ds_write2_b64 v48, v[44:45], v[24:25] offset0:12 offset1:13
	v_accvgpr_read_b32 v24, a28
	v_accvgpr_read_b32 v45, a31
	;; [unrolled: 1-line block ×4, first 2 shown]
	v_mov_b32_e32 v27, v75
	ds_write2_b64 v48, v[44:45], v[24:25] offset0:14 offset1:15
	v_pk_add_f32 v[24:25], v[98:99], v[26:27]
	v_pk_fma_f32 v[26:27], v[104:105], s[2:3], v[88:89] neg_lo:[0,0,1] neg_hi:[0,0,1]
	v_accvgpr_read_b32 v91, a9
	v_accvgpr_read_b32 v27, a27
	v_pk_add_f32 v[24:25], v[26:27], v[24:25]
	v_pk_fma_f32 v[26:27], v[108:109], s[18:19], v[50:51] neg_lo:[0,0,1] neg_hi:[0,0,1]
	v_accvgpr_read_b32 v90, a8
	v_accvgpr_read_b32 v27, a37
	v_pk_add_f32 v[24:25], v[26:27], v[24:25]
	v_pk_fma_f32 v[26:27], v[110:111], s[10:11], v[54:55] neg_lo:[0,0,1] neg_hi:[0,0,1]
	s_nop 0
	v_accvgpr_read_b32 v27, a63
	v_pk_add_f32 v[24:25], v[26:27], v[24:25]
	v_pk_fma_f32 v[26:27], v[112:113], s[60:61], v[58:59] neg_lo:[0,0,1] neg_hi:[0,0,1]
	s_nop 0
	v_mov_b32_e32 v27, v57
	v_pk_add_f32 v[24:25], v[26:27], v[24:25]
	v_pk_fma_f32 v[26:27], v[114:115], s[14:15], v[62:63] neg_lo:[0,0,1] neg_hi:[0,0,1]
	s_nop 0
	v_mov_b32_e32 v27, v61
	v_pk_add_f32 v[24:25], v[26:27], v[24:25]
	v_pk_fma_f32 v[26:27], v[116:117], s[24:25], v[66:67] neg_lo:[0,0,1] neg_hi:[0,0,1]
	s_nop 0
	v_mov_b32_e32 v27, v65
	v_pk_add_f32 v[24:25], v[26:27], v[24:25]
	v_pk_fma_f32 v[26:27], v[118:119], s[16:17], v[70:71] neg_lo:[0,0,1] neg_hi:[0,0,1]
	s_nop 0
	v_mov_b32_e32 v27, v49
	v_pk_add_f32 v[24:25], v[26:27], v[24:25]
	ds_write_b64 v48, v[24:25] offset:128
.LBB0_17:
	s_or_b64 exec, exec, s[46:47]
	v_accvgpr_read_b32 v25, a11
	v_accvgpr_read_b32 v24, a10
	v_mov_b32_e32 v98, v24
	v_mov_b32_e32 v99, v24
	;; [unrolled: 1-line block ×5, first 2 shown]
	v_add_u32_e32 v22, 0xc00, v82
	v_mov_b64_e32 v[88:89], v[24:25]
	s_waitcnt lgkmcnt(0)
	s_barrier
	ds_read2_b64 v[56:59], v82 offset1:68
	ds_read2_b64 v[24:27], v82 offset0:136 offset1:238
	ds_read2_b64 v[60:63], v22 offset0:92 offset1:160
	v_add_u32_e32 v22, 0x1000, v82
	ds_read2_b64 v[44:47], v22 offset0:100 offset1:202
	v_add_u32_e32 v22, 0x800, v82
	;; [unrolled: 2-line block ×3, first 2 shown]
	ds_read2_b64 v[48:51], v22 offset0:14 offset1:82
	v_accvgpr_read_b32 v65, a17
	v_accvgpr_read_b32 v64, a16
	v_mov_b32_e32 v104, v64
	v_mov_b32_e32 v105, v64
	;; [unrolled: 1-line block ×22, first 2 shown]
	v_mov_b64_e32 v[106:107], v[64:65]
	s_and_saveexec_b64 s[2:3], s[0:1]
	s_cbranch_execz .LBB0_19
; %bb.18:
	ds_read_b64 a[34:35], v82 offset:1632
	ds_read_b64 a[32:33], v82 offset:3536
	;; [unrolled: 1-line block ×4, first 2 shown]
.LBB0_19:
	s_or_b64 exec, exec, s[2:3]
	v_accvgpr_read_b32 v67, a19
	v_accvgpr_read_b32 v66, a18
	;; [unrolled: 1-line block ×3, first 2 shown]
	v_mov_b32_e32 v68, v66
	v_mov_b32_e32 v69, v66
	;; [unrolled: 1-line block ×3, first 2 shown]
	v_accvgpr_read_b32 v86, a14
	v_mov_b64_e32 v[116:117], v[66:67]
	v_mov_b32_e32 v66, v86
	v_mov_b32_e32 v67, v86
	v_mov_b32_e32 v86, v87
	s_waitcnt lgkmcnt(4)
	v_pk_mul_f32 v[4:5], v[4:5], v[26:27]
	v_mov_b64_e32 v[114:115], v[86:87]
	s_waitcnt lgkmcnt(3)
	v_pk_mul_f32 v[6:7], v[6:7], v[60:61]
	s_waitcnt lgkmcnt(2)
	v_pk_mul_f32 v[86:87], v[90:91], v[46:47]
	;; [unrolled: 2-line block ×3, first 2 shown]
	v_pk_fma_f32 v[106:107], v[112:113], v[26:27], v[4:5] op_sel:[0,0,1] op_sel_hi:[1,1,0]
	v_pk_fma_f32 v[4:5], v[112:113], v[26:27], v[4:5] op_sel:[0,0,1] op_sel_hi:[1,1,0] neg_lo:[0,0,1] neg_hi:[0,0,1]
	v_pk_fma_f32 v[26:27], v[108:109], v[46:47], v[86:87] op_sel:[0,0,1] op_sel_hi:[1,1,0] neg_lo:[0,0,1] neg_hi:[0,0,1]
	v_mov_b32_e32 v107, v5
	v_pk_fma_f32 v[4:5], v[110:111], v[60:61], v[6:7] op_sel:[0,0,1] op_sel_hi:[1,1,0]
	v_pk_fma_f32 v[6:7], v[110:111], v[60:61], v[6:7] op_sel:[0,0,1] op_sel_hi:[1,1,0] neg_lo:[0,0,1] neg_hi:[0,0,1]
	v_pk_mul_f32 v[12:13], v[12:13], v[52:53]
	v_mov_b32_e32 v5, v7
	v_pk_fma_f32 v[6:7], v[108:109], v[46:47], v[86:87] op_sel:[0,0,1] op_sel_hi:[1,1,0]
	v_pk_add_f32 v[4:5], v[56:57], v[4:5] neg_lo:[0,1] neg_hi:[0,1]
	v_mov_b32_e32 v7, v27
	v_pk_add_f32 v[6:7], v[106:107], v[6:7] neg_lo:[0,1] neg_hi:[0,1]
	v_pk_fma_f32 v[26:27], v[56:57], 2.0, v[4:5] op_sel_hi:[1,0,1] neg_lo:[0,0,1] neg_hi:[0,0,1]
	v_pk_fma_f32 v[46:47], v[106:107], 2.0, v[6:7] op_sel_hi:[1,0,1] neg_lo:[0,0,1] neg_hi:[0,0,1]
	v_pk_add_f32 v[56:57], v[4:5], v[6:7] op_sel:[0,1] op_sel_hi:[1,0]
	v_pk_add_f32 v[6:7], v[4:5], v[6:7] op_sel:[0,1] op_sel_hi:[1,0] neg_lo:[0,1] neg_hi:[0,1]
	v_pk_add_f32 v[46:47], v[26:27], v[46:47] neg_lo:[0,1] neg_hi:[0,1]
	v_mov_b32_e32 v57, v7
	v_pk_fma_f32 v[26:27], v[26:27], 2.0, v[46:47] op_sel_hi:[1,0,1] neg_lo:[0,0,1] neg_hi:[0,0,1]
	v_pk_fma_f32 v[4:5], v[4:5], 2.0, v[56:57] op_sel_hi:[1,0,1] neg_lo:[0,0,1] neg_hi:[0,0,1]
	v_accvgpr_read_b32 v6, a12
	v_pk_mul_f32 v[14:15], v[14:15], v[62:63]
	s_barrier
	ds_write2_b64 v6, v[26:27], v[4:5] offset1:17
	ds_write2_b64 v6, v[46:47], v[56:57] offset0:34 offset1:51
	v_pk_fma_f32 v[4:5], v[102:103], v[52:53], v[12:13] op_sel:[0,0,1] op_sel_hi:[1,1,0]
	v_pk_fma_f32 v[6:7], v[102:103], v[52:53], v[12:13] op_sel:[0,0,1] op_sel_hi:[1,1,0] neg_lo:[0,0,1] neg_hi:[0,0,1]
	v_pk_mul_f32 v[88:89], v[88:89], v[48:49]
	v_mov_b32_e32 v5, v7
	v_pk_fma_f32 v[6:7], v[100:101], v[62:63], v[14:15] op_sel:[0,0,1] op_sel_hi:[1,1,0]
	v_pk_fma_f32 v[12:13], v[100:101], v[62:63], v[14:15] op_sel:[0,0,1] op_sel_hi:[1,1,0] neg_lo:[0,0,1] neg_hi:[0,0,1]
	v_pk_fma_f32 v[14:15], v[98:99], v[48:49], v[88:89] op_sel:[0,0,1] op_sel_hi:[1,1,0] neg_lo:[0,0,1] neg_hi:[0,0,1]
	v_mov_b32_e32 v7, v13
	v_pk_fma_f32 v[12:13], v[98:99], v[48:49], v[88:89] op_sel:[0,0,1] op_sel_hi:[1,1,0]
	v_pk_add_f32 v[6:7], v[58:59], v[6:7] neg_lo:[0,1] neg_hi:[0,1]
	v_mov_b32_e32 v13, v15
	v_pk_add_f32 v[12:13], v[4:5], v[12:13] neg_lo:[0,1] neg_hi:[0,1]
	v_pk_fma_f32 v[14:15], v[58:59], 2.0, v[6:7] op_sel_hi:[1,0,1] neg_lo:[0,0,1] neg_hi:[0,0,1]
	v_pk_fma_f32 v[4:5], v[4:5], 2.0, v[12:13] op_sel_hi:[1,0,1] neg_lo:[0,0,1] neg_hi:[0,0,1]
	v_pk_add_f32 v[26:27], v[6:7], v[12:13] op_sel:[0,1] op_sel_hi:[1,0]
	v_pk_add_f32 v[12:13], v[6:7], v[12:13] op_sel:[0,1] op_sel_hi:[1,0] neg_lo:[0,1] neg_hi:[0,1]
	v_pk_add_f32 v[4:5], v[14:15], v[4:5] neg_lo:[0,1] neg_hi:[0,1]
	v_mov_b32_e32 v27, v13
	v_pk_mul_f32 v[20:21], v[20:21], v[54:55]
	v_pk_fma_f32 v[14:15], v[14:15], 2.0, v[4:5] op_sel_hi:[1,0,1] neg_lo:[0,0,1] neg_hi:[0,0,1]
	v_pk_fma_f32 v[6:7], v[6:7], 2.0, v[26:27] op_sel_hi:[1,0,1] neg_lo:[0,0,1] neg_hi:[0,0,1]
	v_accvgpr_read_b32 v12, a13
	v_pk_mul_f32 v[22:23], v[22:23], v[44:45]
	ds_write2_b64 v12, v[14:15], v[6:7] offset1:17
	ds_write2_b64 v12, v[4:5], v[26:27] offset0:34 offset1:51
	v_pk_fma_f32 v[4:5], v[80:81], v[54:55], v[20:21] op_sel:[0,0,1] op_sel_hi:[1,1,0]
	v_pk_fma_f32 v[6:7], v[80:81], v[54:55], v[20:21] op_sel:[0,0,1] op_sel_hi:[1,1,0] neg_lo:[0,0,1] neg_hi:[0,0,1]
	v_pk_fma_f32 v[12:13], v[78:79], v[44:45], v[22:23] op_sel:[0,0,1] op_sel_hi:[1,1,0] neg_lo:[0,0,1] neg_hi:[0,0,1]
	v_mov_b32_e32 v5, v7
	v_pk_fma_f32 v[6:7], v[78:79], v[44:45], v[22:23] op_sel:[0,0,1] op_sel_hi:[1,1,0]
	v_pk_fma_f32 v[14:15], v[104:105], v[50:51], v[90:91] op_sel:[0,0,1] op_sel_hi:[1,1,0] neg_lo:[0,0,1] neg_hi:[0,0,1]
	v_mov_b32_e32 v7, v13
	v_pk_fma_f32 v[12:13], v[104:105], v[50:51], v[90:91] op_sel:[0,0,1] op_sel_hi:[1,1,0]
	v_pk_add_f32 v[6:7], v[24:25], v[6:7] neg_lo:[0,1] neg_hi:[0,1]
	v_mov_b32_e32 v13, v15
	v_pk_add_f32 v[12:13], v[4:5], v[12:13] neg_lo:[0,1] neg_hi:[0,1]
	v_pk_fma_f32 v[14:15], v[24:25], 2.0, v[6:7] op_sel_hi:[1,0,1] neg_lo:[0,0,1] neg_hi:[0,0,1]
	v_pk_fma_f32 v[4:5], v[4:5], 2.0, v[12:13] op_sel_hi:[1,0,1] neg_lo:[0,0,1] neg_hi:[0,0,1]
	v_pk_add_f32 v[20:21], v[6:7], v[12:13] op_sel:[0,1] op_sel_hi:[1,0]
	v_pk_add_f32 v[12:13], v[6:7], v[12:13] op_sel:[0,1] op_sel_hi:[1,0] neg_lo:[0,1] neg_hi:[0,1]
	v_pk_add_f32 v[4:5], v[14:15], v[4:5] neg_lo:[0,1] neg_hi:[0,1]
	v_mov_b32_e32 v21, v13
	v_mov_b32_e32 v64, v84
	;; [unrolled: 1-line block ×13, first 2 shown]
	v_add_u32_e32 v75, 0x220, v83
	v_pk_fma_f32 v[14:15], v[14:15], 2.0, v[4:5] op_sel_hi:[1,0,1] neg_lo:[0,0,1] neg_hi:[0,0,1]
	v_pk_fma_f32 v[6:7], v[6:7], 2.0, v[20:21] op_sel_hi:[1,0,1] neg_lo:[0,0,1] neg_hi:[0,0,1]
	v_accvgpr_read_b32 v12, a20
	ds_write2_b64 v12, v[14:15], v[6:7] offset1:17
	ds_write2_b64 v12, v[4:5], v[20:21] offset0:34 offset1:51
	s_and_saveexec_b64 s[2:3], s[0:1]
	s_cbranch_execz .LBB0_21
; %bb.20:
	v_accvgpr_read_b32 v26, a30
	v_accvgpr_read_b32 v45, a33
	;; [unrolled: 1-line block ×6, first 2 shown]
	s_movk_i32 s0, 0x44
	v_accvgpr_read_b32 v14, a3
	v_accvgpr_read_b32 v15, a6
	v_pk_mul_f32 v[4:5], v[2:3], v[26:27] op_sel:[0,1]
	v_pk_mul_f32 v[6:7], v[0:1], v[44:45] op_sel_hi:[1,0]
	v_accvgpr_read_b32 v22, a4
	v_accvgpr_read_b32 v25, a29
	v_mad_legacy_u16 v14, v14, s0, v15
	v_accvgpr_read_b32 v15, a1
	v_pk_mul_f32 v[12:13], v[22:23], v[24:25] op_sel_hi:[1,0]
	v_lshl_add_u32 v20, v14, 3, v15
	v_pk_fma_f32 v[14:15], v[2:3], v[26:27], v[4:5] op_sel:[0,0,1] op_sel_hi:[1,1,0]
	v_pk_fma_f32 v[2:3], v[2:3], v[26:27], v[4:5] op_sel:[0,0,1] op_sel_hi:[1,0,0] neg_lo:[1,0,0] neg_hi:[1,0,0]
	v_pk_fma_f32 v[4:5], v[0:1], v[44:45], v[6:7] op_sel:[0,1,1] op_sel_hi:[1,1,0] neg_lo:[0,0,1] neg_hi:[0,0,1]
	v_pk_fma_f32 v[0:1], v[0:1], v[44:45], v[6:7] op_sel:[0,1,1] op_sel_hi:[1,1,0]
	v_accvgpr_read_b32 v26, a34
	v_mov_b32_e32 v5, v1
	v_pk_fma_f32 v[0:1], v[22:23], v[24:25], v[12:13] op_sel:[0,1,1] op_sel_hi:[1,1,0] neg_lo:[0,0,1] neg_hi:[0,0,1]
	v_pk_fma_f32 v[6:7], v[22:23], v[24:25], v[12:13] op_sel:[0,1,1] op_sel_hi:[1,1,0]
	v_mov_b32_e32 v15, v3
	v_accvgpr_read_b32 v27, a35
	v_mov_b32_e32 v1, v7
	v_pk_add_f32 v[2:3], v[26:27], v[14:15] neg_lo:[0,1] neg_hi:[0,1]
	v_pk_add_f32 v[0:1], v[4:5], v[0:1] neg_lo:[0,1] neg_hi:[0,1]
	s_nop 0
	v_pk_add_f32 v[6:7], v[2:3], v[0:1]
	v_pk_add_f32 v[12:13], v[2:3], v[0:1] neg_lo:[0,1] neg_hi:[0,1]
	v_pk_fma_f32 v[0:1], v[4:5], 2.0, v[0:1] op_sel_hi:[1,0,1] neg_lo:[0,0,1] neg_hi:[0,0,1]
	v_mov_b32_e32 v7, v13
	v_pk_fma_f32 v[12:13], v[2:3], 2.0, v[6:7] op_sel_hi:[1,0,1] neg_lo:[0,0,1] neg_hi:[0,0,1]
	v_pk_fma_f32 v[2:3], v[26:27], 2.0, v[2:3] op_sel_hi:[1,0,1] neg_lo:[0,0,1] neg_hi:[0,0,1]
	s_nop 0
	v_pk_add_f32 v[0:1], v[2:3], v[0:1] op_sel:[0,1] op_sel_hi:[1,0] neg_lo:[0,1] neg_hi:[0,1]
	s_nop 0
	v_pk_fma_f32 v[2:3], v[2:3], 2.0, v[0:1] op_sel_hi:[1,0,1] neg_lo:[0,0,1] neg_hi:[0,0,1]
	ds_write2_b64 v20, v[2:3], v[12:13] offset1:17
	ds_write2_b64 v20, v[0:1], v[6:7] offset0:34 offset1:51
.LBB0_21:
	s_or_b64 exec, exec, s[2:3]
	v_add_u32_e32 v56, 0xc00, v82
	s_waitcnt lgkmcnt(0)
	s_barrier
	ds_read2_b64 v[0:3], v56 offset0:92 offset1:160
	ds_read2_b64 v[4:7], v82 offset1:68
	v_add_u32_e32 v57, 0x1800, v82
	v_add_u32_e32 v58, 0x800, v82
	;; [unrolled: 1-line block ×3, first 2 shown]
	s_waitcnt lgkmcnt(1)
	v_pk_mul_f32 v[12:13], v[84:85], v[0:1]
	v_add_u32_e32 v60, 0x400, v82
	v_pk_fma_f32 v[20:21], v[64:65], v[0:1], v[12:13] op_sel:[0,0,1] op_sel_hi:[1,1,0]
	v_pk_fma_f32 v[0:1], v[64:65], v[0:1], v[12:13] op_sel:[0,0,1] op_sel_hi:[1,1,0] neg_lo:[0,0,1] neg_hi:[0,0,1]
	ds_read2_b64 v[12:15], v57 offset0:48 offset1:116
	v_mov_b32_e32 v21, v1
	s_waitcnt lgkmcnt(1)
	v_pk_add_f32 v[0:1], v[4:5], v[20:21] neg_lo:[0,1] neg_hi:[0,1]
	ds_read2_b64 v[20:23], v58 offset0:84 offset1:152
	v_pk_fma_f32 v[4:5], v[4:5], 2.0, v[0:1] op_sel_hi:[1,0,1] neg_lo:[0,0,1] neg_hi:[0,0,1]
	s_waitcnt lgkmcnt(1)
	v_pk_mul_f32 v[24:25], v[96:97], v[14:15]
	s_mov_b32 s14, 0x3f08b237
	v_pk_fma_f32 v[26:27], v[76:77], v[14:15], v[24:25] op_sel:[0,0,1] op_sel_hi:[1,1,0]
	v_pk_fma_f32 v[14:15], v[76:77], v[14:15], v[24:25] op_sel:[0,0,1] op_sel_hi:[1,1,0] neg_lo:[0,0,1] neg_hi:[0,0,1]
	s_mov_b32 s20, 0x3d64c772
	v_mov_b32_e32 v27, v15
	v_pk_mul_f32 v[14:15], v[94:95], v[12:13]
	s_waitcnt lgkmcnt(0)
	v_pk_add_f32 v[44:45], v[22:23], v[26:27] neg_lo:[0,1] neg_hi:[0,1]
	v_pk_fma_f32 v[24:25], v[72:73], v[12:13], v[14:15] op_sel:[0,0,1] op_sel_hi:[1,1,0]
	v_pk_fma_f32 v[26:27], v[72:73], v[12:13], v[14:15] op_sel:[0,0,1] op_sel_hi:[1,1,0] neg_lo:[0,0,1] neg_hi:[0,0,1]
	ds_read2_b64 v[12:15], v59 offset0:168 offset1:236
	v_mov_b32_e32 v25, v27
	v_pk_add_f32 v[46:47], v[20:21], v[24:25] neg_lo:[0,1] neg_hi:[0,1]
	ds_read2_b64 v[24:27], v60 offset0:76 offset1:144
	s_mov_b32 s15, 0xbeae86e6
	s_waitcnt lgkmcnt(1)
	v_pk_mul_f32 v[48:49], v[92:93], v[14:15]
	s_mov_b32 s21, 0x3f4a47b2
	v_pk_fma_f32 v[50:51], v[70:71], v[14:15], v[48:49] op_sel:[0,0,1] op_sel_hi:[1,1,0]
	v_pk_fma_f32 v[14:15], v[70:71], v[14:15], v[48:49] op_sel:[0,0,1] op_sel_hi:[1,1,0] neg_lo:[0,0,1] neg_hi:[0,0,1]
	v_pk_mul_f32 v[48:49], v[116:117], v[12:13]
	v_mov_b32_e32 v51, v15
	s_waitcnt lgkmcnt(0)
	v_pk_add_f32 v[14:15], v[26:27], v[50:51] neg_lo:[0,1] neg_hi:[0,1]
	ds_read_b64 v[50:51], v82 offset:1088
	ds_read_b64 v[52:53], v82 offset:4896
	v_pk_fma_f32 v[54:55], v[68:69], v[12:13], v[48:49] op_sel:[0,0,1] op_sel_hi:[1,1,0]
	v_pk_fma_f32 v[12:13], v[68:69], v[12:13], v[48:49] op_sel:[0,0,1] op_sel_hi:[1,1,0] neg_lo:[0,0,1] neg_hi:[0,0,1]
	s_waitcnt lgkmcnt(0)
	v_mov_b32_e32 v55, v13
	v_pk_mul_f32 v[48:49], v[114:115], v[52:53]
	v_pk_add_f32 v[12:13], v[24:25], v[54:55] neg_lo:[0,1] neg_hi:[0,1]
	v_pk_fma_f32 v[54:55], v[66:67], v[52:53], v[48:49] op_sel:[0,0,1] op_sel_hi:[1,1,0]
	v_pk_fma_f32 v[48:49], v[66:67], v[52:53], v[48:49] op_sel:[0,0,1] op_sel_hi:[1,1,0] neg_lo:[0,0,1] neg_hi:[0,0,1]
	v_pk_mul_f32 v[52:53], v[84:85], v[2:3]
	v_mov_b32_e32 v55, v49
	v_pk_add_f32 v[48:49], v[50:51], v[54:55] neg_lo:[0,1] neg_hi:[0,1]
	v_pk_fma_f32 v[54:55], v[64:65], v[2:3], v[52:53] op_sel:[0,0,1] op_sel_hi:[1,1,0]
	v_pk_fma_f32 v[2:3], v[64:65], v[2:3], v[52:53] op_sel:[0,0,1] op_sel_hi:[1,1,0] neg_lo:[0,0,1] neg_hi:[0,0,1]
	s_barrier
	v_mov_b32_e32 v55, v3
	v_pk_add_f32 v[2:3], v[6:7], v[54:55] neg_lo:[0,1] neg_hi:[0,1]
	ds_write2_b64 v82, v[4:5], v[0:1] offset1:68
	v_pk_fma_f32 v[0:1], v[6:7], 2.0, v[2:3] op_sel_hi:[1,0,1] neg_lo:[0,0,1] neg_hi:[0,0,1]
	ds_write2_b64 v82, v[0:1], v[2:3] offset0:136 offset1:204
	v_accvgpr_read_b32 v0, a25
	v_pk_fma_f32 v[50:51], v[50:51], 2.0, v[48:49] op_sel_hi:[1,0,1] neg_lo:[0,0,1] neg_hi:[0,0,1]
	v_add_u32_e32 v0, 0x800, v0
	v_accvgpr_read_b32 v2, a24
	ds_write2_b64 v0, v[50:51], v[48:49] offset0:16 offset1:84
	v_pk_fma_f32 v[0:1], v[24:25], 2.0, v[12:13] op_sel_hi:[1,0,1] neg_lo:[0,0,1] neg_hi:[0,0,1]
	v_add_u32_e32 v2, 0x800, v2
	ds_write2_b64 v2, v[0:1], v[12:13] offset0:152 offset1:220
	v_accvgpr_read_b32 v2, a23
	v_pk_fma_f32 v[0:1], v[26:27], 2.0, v[14:15] op_sel_hi:[1,0,1] neg_lo:[0,0,1] neg_hi:[0,0,1]
	v_add_u32_e32 v2, 0x1000, v2
	ds_write2_b64 v2, v[0:1], v[14:15] offset0:32 offset1:100
	v_accvgpr_read_b32 v2, a22
	;; [unrolled: 4-line block ×3, first 2 shown]
	v_pk_fma_f32 v[0:1], v[22:23], 2.0, v[44:45] op_sel_hi:[1,0,1] neg_lo:[0,0,1] neg_hi:[0,0,1]
	v_add_u32_e32 v2, 0x1800, v2
	ds_write2_b64 v2, v[0:1], v[44:45] offset0:48 offset1:116
	s_waitcnt lgkmcnt(0)
	s_barrier
	ds_read2_b64 v[0:3], v58 offset0:84 offset1:152
	ds_read2_b64 v[4:7], v60 offset0:76 offset1:144
	ds_read2_b64 v[12:15], v59 offset0:168 offset1:236
	ds_read2_b64 v[20:23], v57 offset0:48 offset1:116
	ds_read2_b64 v[24:27], v56 offset0:92 offset1:160
	v_mov_b32_e32 v46, v41
	ds_read_b64 v[52:53], v82 offset:1088
	ds_read_b64 v[54:55], v82 offset:4896
	s_waitcnt lgkmcnt(6)
	v_pk_mul_f32 v[48:49], v[40:41], v[2:3] op_sel:[0,1] op_sel_hi:[1,0]
	v_pk_mul_f32 v[44:45], v[40:41], v[2:3]
	v_mov_b32_e32 v48, v49
	s_waitcnt lgkmcnt(2)
	v_pk_mul_f32 v[50:51], v[42:43], v[26:27] op_sel:[0,1] op_sel_hi:[1,0]
	v_pk_mul_f32 v[46:47], v[46:47], v[2:3] op_sel:[0,1] op_sel_hi:[1,0]
	v_pk_fma_f32 v[2:3], v[40:41], v[2:3], v[48:49] op_sel:[0,1,0] op_sel_hi:[1,0,1] neg_lo:[0,0,1] neg_hi:[0,0,1]
	v_mov_b32_e32 v48, v43
	v_mov_b32_e32 v50, v51
	v_pk_mul_f32 v[40:41], v[42:43], v[26:27]
	v_pk_mul_f32 v[48:49], v[48:49], v[26:27] op_sel:[0,1] op_sel_hi:[1,0]
	v_pk_fma_f32 v[42:43], v[42:43], v[26:27], v[50:51] op_sel:[0,1,0] op_sel_hi:[1,0,1] neg_lo:[0,0,1] neg_hi:[0,0,1]
	v_mov_b32_e32 v26, v37
	v_pk_mul_f32 v[56:57], v[26:27], v[24:25] op_sel:[0,1] op_sel_hi:[1,0]
	v_pk_mul_f32 v[26:27], v[36:37], v[24:25] op_sel:[0,1] op_sel_hi:[1,0]
	v_pk_mul_f32 v[50:51], v[36:37], v[24:25]
	v_mov_b32_e32 v26, v27
	v_pk_fma_f32 v[36:37], v[36:37], v[24:25], v[26:27] op_sel:[0,1,0] op_sel_hi:[1,0,1] neg_lo:[0,0,1] neg_hi:[0,0,1]
	v_mov_b32_e32 v24, v39
	s_waitcnt lgkmcnt(0)
	v_pk_mul_f32 v[60:61], v[24:25], v[54:55] op_sel:[0,1] op_sel_hi:[1,0]
	v_pk_mul_f32 v[24:25], v[38:39], v[54:55] op_sel:[0,1] op_sel_hi:[1,0]
	v_pk_mul_f32 v[58:59], v[38:39], v[54:55]
	v_mov_b32_e32 v24, v25
	v_pk_fma_f32 v[38:39], v[38:39], v[54:55], v[24:25] op_sel:[0,1,0] op_sel_hi:[1,0,1] neg_lo:[0,0,1] neg_hi:[0,0,1]
	v_mov_b32_e32 v54, v53
	v_pk_mul_f32 v[62:63], v[32:33], v[52:53] op_sel_hi:[1,0]
	ds_read2_b64 v[24:27], v82 offset1:68
	v_pk_fma_f32 v[54:55], v[32:33], v[54:55], v[62:63] op_sel:[0,0,1] op_sel_hi:[1,1,0] neg_lo:[0,0,1] neg_hi:[0,0,1]
	v_pk_fma_f32 v[32:33], v[32:33], v[52:53], v[62:63] op_sel:[0,1,1] op_sel_hi:[1,1,0]
	v_pk_mul_f32 v[52:53], v[34:35], v[6:7] op_sel_hi:[1,0]
	v_mov_b32_e32 v32, v7
	v_mov_b32_e32 v55, v33
	v_pk_fma_f32 v[32:33], v[34:35], v[32:33], v[52:53] op_sel:[0,0,1] op_sel_hi:[1,1,0] neg_lo:[0,0,1] neg_hi:[0,0,1]
	v_pk_fma_f32 v[6:7], v[34:35], v[6:7], v[52:53] op_sel:[0,1,1] op_sel_hi:[1,1,0]
	v_pk_mul_f32 v[34:35], v[28:29], v[12:13] op_sel_hi:[1,0]
	v_mov_b32_e32 v6, v13
	v_pk_fma_f32 v[12:13], v[28:29], v[12:13], v[34:35] op_sel:[0,1,1] op_sel_hi:[1,1,0]
	v_mov_b32_e32 v33, v7
	v_pk_fma_f32 v[6:7], v[28:29], v[6:7], v[34:35] op_sel:[0,0,1] op_sel_hi:[1,1,0] neg_lo:[0,0,1] neg_hi:[0,0,1]
	v_mov_b32_e32 v12, v21
	v_pk_mul_f32 v[28:29], v[30:31], v[20:21] op_sel_hi:[1,0]
	v_mov_b32_e32 v7, v13
	v_pk_fma_f32 v[12:13], v[30:31], v[12:13], v[28:29] op_sel:[0,0,1] op_sel_hi:[1,1,0] neg_lo:[0,0,1] neg_hi:[0,0,1]
	v_pk_fma_f32 v[20:21], v[30:31], v[20:21], v[28:29] op_sel:[0,1,1] op_sel_hi:[1,1,0]
	v_mov_b32_e32 v41, v54
	v_mov_b32_e32 v13, v21
	;; [unrolled: 1-line block ×5, first 2 shown]
	v_pk_add_f32 v[20:21], v[54:55], v[12:13]
	v_pk_add_f32 v[28:29], v[54:55], v[12:13] neg_lo:[0,1] neg_hi:[0,1]
	v_pk_add_f32 v[30:31], v[32:33], v[6:7]
	v_pk_add_f32 v[34:35], v[32:33], v[6:7] neg_lo:[0,1] neg_hi:[0,1]
	v_pk_add_f32 v[12:13], v[40:41], v[48:49]
	v_pk_add_f32 v[6:7], v[44:45], v[46:47]
	v_mov_b32_e32 v43, v12
	v_mov_b32_e32 v3, v6
	v_pk_add_f32 v[32:33], v[42:43], v[2:3] neg_lo:[0,1] neg_hi:[0,1]
	v_mov_b32_e32 v48, v31
	v_mov_b32_e32 v49, v2
	;; [unrolled: 1-line block ×8, first 2 shown]
	v_pk_add_f32 v[2:3], v[48:49], v[2:3]
	v_pk_add_f32 v[42:43], v[6:7], v[12:13]
	v_pk_add_f32 v[40:41], v[40:41], v[44:45] neg_lo:[0,1] neg_hi:[0,1]
	v_mov_b32_e32 v44, v28
	v_mov_b32_e32 v46, v32
	v_mov_b32_e32 v47, v35
	v_mov_b32_e32 v12, v42
	v_mov_b32_e32 v49, v3
	v_mov_b32_e32 v52, v21
	v_mov_b32_e32 v53, v3
	v_mov_b32_e32 v6, v42
	v_pk_add_f32 v[44:45], v[44:45], v[46:47] neg_lo:[0,1] neg_hi:[0,1]
	s_mov_b32 s2, s15
	s_mov_b32 s3, s14
	v_pk_add_f32 v[48:49], v[12:13], v[48:49] neg_lo:[0,1] neg_hi:[0,1]
	v_pk_add_f32 v[52:53], v[52:53], v[6:7] neg_lo:[0,1] neg_hi:[0,1]
	s_mov_b32 s22, s21
	s_mov_b32 s23, s20
	v_pk_mul_f32 v[40:41], v[40:41], s[14:15]
	v_pk_mul_f32 v[46:47], v[44:45], s[2:3]
	v_pk_add_f32 v[32:33], v[32:33], v[34:35]
	v_pk_add_f32 v[2:3], v[2:3], v[42:43]
	v_pk_mul_f32 v[42:43], v[48:49], s[20:21]
	v_pk_mul_f32 v[48:49], v[52:53], s[22:23]
	v_mov_b32_e32 v6, v31
	v_mov_b32_e32 v12, v21
	s_movk_i32 s11, 0x1000
	v_pk_add_f32 v[32:33], v[32:33], v[28:29]
	s_waitcnt lgkmcnt(0)
	v_pk_add_f32 v[24:25], v[24:25], v[2:3]
	s_mov_b32 s18, 0x3f955555
	v_pk_fma_f32 v[52:53], v[52:53], s[22:23], v[42:43]
	v_pk_fma_f32 v[44:45], v[44:45], s[2:3], v[40:41]
	v_pk_add_f32 v[28:29], v[34:35], v[28:29] neg_lo:[0,1] neg_hi:[0,1]
	s_mov_b32 s10, 0xbf5ff5aa
	v_pk_add_f32 v[6:7], v[6:7], v[12:13] neg_lo:[0,1] neg_hi:[0,1]
	s_mov_b32 s16, 0x3f3bfb3b
	v_mov_b32_e32 v12, v48
	v_mov_b32_e32 v13, v43
	;; [unrolled: 1-line block ×6, first 2 shown]
	s_mov_b32 s0, 0xbee1c552
	v_pk_fma_f32 v[2:3], v[2:3], s[18:19], v[24:25] op_sel_hi:[1,0,1] neg_lo:[1,0,0] neg_hi:[1,0,0]
	v_pk_fma_f32 v[12:13], v[6:7], s[16:17], v[12:13] op_sel_hi:[1,0,1] neg_lo:[1,0,1] neg_hi:[1,0,1]
	;; [unrolled: 1-line block ×5, first 2 shown]
	v_pk_add_f32 v[52:53], v[52:53], v[2:3]
	v_pk_add_f32 v[12:13], v[12:13], v[2:3]
	v_pk_fma_f32 v[20:21], v[32:33], s[0:1], v[20:21] op_sel_hi:[1,0,1]
	v_pk_add_f32 v[2:3], v[6:7], v[2:3]
	v_pk_fma_f32 v[6:7], v[32:33], s[0:1], v[28:29] op_sel_hi:[1,0,1]
	v_pk_fma_f32 v[44:45], v[32:33], s[0:1], v[44:45] op_sel_hi:[1,0,1]
	v_pk_add_f32 v[30:31], v[12:13], v[20:21]
	v_pk_add_f32 v[12:13], v[12:13], v[20:21] neg_lo:[0,1] neg_hi:[0,1]
	v_pk_add_f32 v[28:29], v[2:3], v[6:7] neg_lo:[0,1] neg_hi:[0,1]
	v_pk_add_f32 v[6:7], v[2:3], v[6:7]
	v_pk_add_f32 v[54:55], v[52:53], v[44:45]
	v_pk_add_f32 v[44:45], v[52:53], v[44:45] neg_lo:[0,1] neg_hi:[0,1]
	v_accvgpr_read_b32 v52, a26
	v_mov_b32_e32 v21, v13
	v_mov_b32_e32 v33, v7
	;; [unrolled: 1-line block ×4, first 2 shown]
	v_add_u32_e32 v2, 0x1000, v83
	ds_write_b64 v52, v[24:25]
	ds_write2_b64 v2, v[6:7], v[12:13] offset0:32 offset1:168
	v_mov_b32_e32 v6, v5
	v_pk_mul_f32 v[12:13], v[16:17], v[4:5] op_sel_hi:[1,0]
	v_mov_b32_e32 v32, v28
	v_pk_fma_f32 v[6:7], v[16:17], v[6:7], v[12:13] op_sel:[0,0,1] op_sel_hi:[1,1,0] neg_lo:[0,0,1] neg_hi:[0,0,1]
	v_pk_fma_f32 v[4:5], v[16:17], v[4:5], v[12:13] op_sel:[0,1,1] op_sel_hi:[1,1,0]
	v_pk_mul_f32 v[12:13], v[18:19], v[0:1] op_sel_hi:[1,0]
	v_mov_b32_e32 v4, v1
	v_pk_fma_f32 v[0:1], v[18:19], v[0:1], v[12:13] op_sel:[0,1,1] op_sel_hi:[1,1,0]
	v_mov_b32_e32 v7, v5
	v_pk_fma_f32 v[4:5], v[18:19], v[4:5], v[12:13] op_sel:[0,0,1] op_sel_hi:[1,1,0] neg_lo:[0,0,1] neg_hi:[0,0,1]
	v_mov_b32_e32 v0, v15
	v_pk_mul_f32 v[12:13], v[8:9], v[14:15] op_sel_hi:[1,0]
	v_mov_b32_e32 v5, v1
	v_pk_fma_f32 v[0:1], v[8:9], v[0:1], v[12:13] op_sel:[0,0,1] op_sel_hi:[1,1,0] neg_lo:[0,0,1] neg_hi:[0,0,1]
	v_pk_fma_f32 v[8:9], v[8:9], v[14:15], v[12:13] op_sel:[0,1,1] op_sel_hi:[1,1,0]
	v_pk_mul_f32 v[12:13], v[10:11], v[22:23] op_sel_hi:[1,0]
	v_mov_b32_e32 v8, v23
	v_mov_b32_e32 v1, v9
	v_pk_fma_f32 v[8:9], v[10:11], v[8:9], v[12:13] op_sel:[0,0,1] op_sel_hi:[1,1,0] neg_lo:[0,0,1] neg_hi:[0,0,1]
	v_pk_fma_f32 v[10:11], v[10:11], v[22:23], v[12:13] op_sel:[0,1,1] op_sel_hi:[1,1,0]
	v_mov_b32_e32 v59, v6
	v_mov_b32_e32 v9, v11
	v_mov_b32_e32 v61, v8
	v_mov_b32_e32 v51, v4
	v_mov_b32_e32 v57, v0
	v_pk_add_f32 v[10:11], v[6:7], v[8:9]
	v_pk_add_f32 v[12:13], v[6:7], v[8:9] neg_lo:[0,1] neg_hi:[0,1]
	v_pk_add_f32 v[14:15], v[4:5], v[0:1]
	v_pk_add_f32 v[16:17], v[4:5], v[0:1] neg_lo:[0,1] neg_hi:[0,1]
	v_pk_add_f32 v[6:7], v[58:59], v[60:61]
	v_pk_add_f32 v[0:1], v[50:51], v[56:57]
	v_mov_b32_e32 v39, v6
	v_mov_b32_e32 v37, v0
	v_pk_add_f32 v[4:5], v[38:39], v[36:37] neg_lo:[0,1] neg_hi:[0,1]
	v_mov_b32_e32 v22, v15
	v_mov_b32_e32 v23, v36
	;; [unrolled: 1-line block ×5, first 2 shown]
	v_add_u32_e32 v3, 0x800, v83
	v_mov_b32_e32 v8, v4
	v_mov_b32_e32 v9, v13
	;; [unrolled: 1-line block ×4, first 2 shown]
	v_pk_add_f32 v[22:23], v[22:23], v[28:29]
	v_pk_add_f32 v[28:29], v[0:1], v[6:7]
	ds_write2_b64 v3, v[20:21], v[32:33] offset0:16 offset1:152
	v_pk_add_f32 v[8:9], v[8:9], v[18:19] neg_lo:[0,1] neg_hi:[0,1]
	v_mov_b32_e32 v18, v12
	v_mov_b32_e32 v20, v4
	;; [unrolled: 1-line block ×9, first 2 shown]
	v_pk_add_f32 v[18:19], v[18:19], v[20:21] neg_lo:[0,1] neg_hi:[0,1]
	v_pk_add_f32 v[30:31], v[6:7], v[30:31] neg_lo:[0,1] neg_hi:[0,1]
	v_pk_add_f32 v[32:33], v[32:33], v[0:1] neg_lo:[0,1] neg_hi:[0,1]
	v_pk_mul_f32 v[8:9], v[8:9], s[14:15]
	v_pk_mul_f32 v[20:21], v[18:19], s[2:3]
	v_pk_add_f32 v[4:5], v[4:5], v[16:17]
	v_pk_add_f32 v[22:23], v[22:23], v[28:29]
	v_pk_mul_f32 v[28:29], v[30:31], s[20:21]
	v_pk_mul_f32 v[30:31], v[32:33], s[22:23]
	v_mov_b32_e32 v0, v15
	v_mov_b32_e32 v6, v11
	v_pk_add_f32 v[4:5], v[4:5], v[12:13]
	v_pk_add_f32 v[26:27], v[26:27], v[22:23]
	v_pk_add_f32 v[12:13], v[16:17], v[12:13] neg_lo:[0,1] neg_hi:[0,1]
	v_pk_add_f32 v[0:1], v[0:1], v[6:7] neg_lo:[0,1] neg_hi:[0,1]
	v_mov_b32_e32 v6, v30
	v_mov_b32_e32 v7, v29
	;; [unrolled: 1-line block ×4, first 2 shown]
	v_pk_fma_f32 v[22:23], v[22:23], s[18:19], v[26:27] op_sel_hi:[1,0,1] neg_lo:[1,0,0] neg_hi:[1,0,0]
	v_pk_fma_f32 v[32:33], v[32:33], s[22:23], v[28:29]
	v_pk_fma_f32 v[18:19], v[18:19], s[2:3], v[8:9]
	v_pk_fma_f32 v[6:7], v[0:1], s[16:17], v[6:7] op_sel_hi:[1,0,1] neg_lo:[1,0,1] neg_hi:[1,0,1]
	v_pk_fma_f32 v[10:11], v[12:13], s[10:11], v[10:11] op_sel_hi:[1,0,1] neg_lo:[1,0,1] neg_hi:[1,0,1]
	v_mov_b32_e32 v29, v31
	v_mov_b32_e32 v9, v21
	v_pk_add_f32 v[32:33], v[32:33], v[22:23]
	v_pk_fma_f32 v[18:19], v[4:5], s[0:1], v[18:19] op_sel_hi:[1,0,1]
	v_pk_add_f32 v[6:7], v[6:7], v[22:23]
	v_pk_fma_f32 v[10:11], v[4:5], s[0:1], v[10:11] op_sel_hi:[1,0,1]
	v_pk_fma_f32 v[0:1], v[0:1], s[16:17], v[28:29] op_sel_hi:[1,0,1] neg_lo:[0,0,1] neg_hi:[0,0,1]
	v_pk_fma_f32 v[8:9], v[12:13], s[10:11], v[8:9] op_sel_hi:[1,0,1] neg_lo:[0,0,1] neg_hi:[0,0,1]
	v_mov_b32_e32 v24, v54
	v_mov_b32_e32 v25, v45
	v_pk_add_f32 v[34:35], v[32:33], v[18:19]
	v_pk_add_f32 v[18:19], v[32:33], v[18:19] neg_lo:[0,1] neg_hi:[0,1]
	v_pk_add_f32 v[14:15], v[6:7], v[10:11]
	v_pk_add_f32 v[6:7], v[6:7], v[10:11] neg_lo:[0,1] neg_hi:[0,1]
	v_pk_add_f32 v[0:1], v[0:1], v[22:23]
	v_pk_fma_f32 v[4:5], v[4:5], s[0:1], v[8:9] op_sel_hi:[1,0,1]
	ds_write2_b64 v83, v[26:27], v[24:25] offset0:68 offset1:136
	v_mov_b32_e32 v24, v34
	v_mov_b32_e32 v25, v19
	;; [unrolled: 1-line block ×4, first 2 shown]
	v_add_u32_e32 v7, 0x400, v75
	v_pk_add_f32 v[8:9], v[0:1], v[4:5] neg_lo:[0,1] neg_hi:[0,1]
	v_pk_add_f32 v[0:1], v[0:1], v[4:5]
	ds_write2_b64 v7, v[24:25], v[10:11] offset0:8 offset1:144
	v_mov_b32_e32 v4, v8
	v_mov_b32_e32 v5, v1
	v_mov_b32_e32 v1, v9
	v_add_u32_e32 v7, 0xc00, v75
	ds_write2_b64 v7, v[4:5], v[0:1] offset0:24 offset1:160
	v_mov_b32_e32 v7, v15
	v_mov_b32_e32 v19, v35
	v_add_u32_e32 v0, 0x1400, v75
	v_mov_b32_e32 v45, v55
	ds_write2_b64 v0, v[6:7], v[18:19] offset0:40 offset1:176
	s_and_b64 s[0:1], exec, vcc
	v_accvgpr_read_b32 v18, a2
	ds_write_b64 v83, v[44:45] offset:6528
	s_waitcnt lgkmcnt(0)
	s_barrier
	s_mov_b64 exec, s[0:1]
	s_cbranch_execz .LBB0_23
; %bb.22:
	global_load_dwordx2 v[4:5], v74, s[8:9]
	ds_read_b64 v[8:9], v52
	v_mad_u64_u32 v[6:7], s[0:1], s6, v18, 0
	v_mov_b32_e32 v12, v7
	v_mad_u64_u32 v[12:13], s[2:3], s7, v18, v[12:13]
	v_mov_b32_e32 v0, s12
	v_mov_b32_e32 v1, s13
	v_accvgpr_read_b32 v16, a0
	v_mov_b32_e32 v7, v12
	v_mad_u64_u32 v[10:11], s[2:3], s4, v16, 0
	v_lshl_add_u64 v[0:1], v[6:7], 3, v[0:1]
	s_mov_b32 s0, 0x1135c811
	v_mov_b32_e32 v14, v11
	s_mov_b32 s1, 0x3f5135c8
	v_mad_u64_u32 v[14:15], s[2:3], s5, v16, v[14:15]
	v_mov_b32_e32 v11, v14
	v_lshl_add_u64 v[10:11], v[10:11], 3, v[0:1]
	v_mov_b32_e32 v14, 0x1c0
	s_mul_i32 s2, s5, 0x1c0
	v_mov_b32_e32 v75, 0
	v_mov_b32_e32 v15, 0x380
	s_mul_i32 s3, s5, 0x380
	s_waitcnt vmcnt(0) lgkmcnt(0)
	v_mul_f32_e32 v6, v9, v5
	v_mul_f32_e32 v5, v8, v5
	v_fmac_f32_e32 v6, v8, v4
	v_fma_f32 v7, v4, v9, -v5
	v_cvt_f64_f32_e32 v[4:5], v6
	v_cvt_f64_f32_e32 v[6:7], v7
	v_mul_f64 v[4:5], v[4:5], s[0:1]
	v_mul_f64 v[6:7], v[6:7], s[0:1]
	v_cvt_f32_f64_e32 v4, v[4:5]
	v_cvt_f32_f64_e32 v5, v[6:7]
	global_store_dwordx2 v[10:11], v[4:5], off
	global_load_dwordx2 v[8:9], v74, s[8:9] offset:448
	ds_read2_b64 v[4:7], v83 offset0:56 offset1:112
	v_mad_u64_u32 v[10:11], s[6:7], s4, v14, v[10:11]
	v_add_u32_e32 v11, s2, v11
	s_waitcnt vmcnt(0) lgkmcnt(0)
	v_mul_f32_e32 v12, v5, v9
	v_mul_f32_e32 v9, v4, v9
	v_fmac_f32_e32 v12, v4, v8
	v_fma_f32 v8, v8, v5, -v9
	v_cvt_f64_f32_e32 v[4:5], v12
	v_cvt_f64_f32_e32 v[8:9], v8
	v_mul_f64 v[4:5], v[4:5], s[0:1]
	v_mul_f64 v[8:9], v[8:9], s[0:1]
	v_cvt_f32_f64_e32 v4, v[4:5]
	v_cvt_f32_f64_e32 v5, v[8:9]
	global_store_dwordx2 v[10:11], v[4:5], off
	global_load_dwordx2 v[4:5], v74, s[8:9] offset:896
	v_mad_u64_u32 v[8:9], s[6:7], s4, v14, v[10:11]
	v_add_u32_e32 v9, s2, v9
	s_waitcnt vmcnt(0)
	v_mul_f32_e32 v10, v7, v5
	v_mul_f32_e32 v5, v6, v5
	v_fmac_f32_e32 v10, v6, v4
	v_fma_f32 v6, v4, v7, -v5
	v_cvt_f64_f32_e32 v[4:5], v10
	v_cvt_f64_f32_e32 v[6:7], v6
	v_mul_f64 v[4:5], v[4:5], s[0:1]
	v_mul_f64 v[6:7], v[6:7], s[0:1]
	v_cvt_f32_f64_e32 v4, v[4:5]
	v_cvt_f32_f64_e32 v5, v[6:7]
	global_store_dwordx2 v[8:9], v[4:5], off
	global_load_dwordx2 v[10:11], v74, s[8:9] offset:1344
	ds_read2_b64 v[4:7], v83 offset0:168 offset1:224
	v_mad_u64_u32 v[8:9], s[6:7], s4, v14, v[8:9]
	v_add_u32_e32 v9, s2, v9
	s_waitcnt vmcnt(0) lgkmcnt(0)
	v_mul_f32_e32 v12, v5, v11
	v_mul_f32_e32 v11, v4, v11
	v_fmac_f32_e32 v12, v4, v10
	v_fma_f32 v10, v10, v5, -v11
	v_cvt_f64_f32_e32 v[4:5], v12
	v_cvt_f64_f32_e32 v[10:11], v10
	v_mul_f64 v[4:5], v[4:5], s[0:1]
	v_mul_f64 v[10:11], v[10:11], s[0:1]
	v_cvt_f32_f64_e32 v4, v[4:5]
	v_cvt_f32_f64_e32 v5, v[10:11]
	global_store_dwordx2 v[8:9], v[4:5], off
	global_load_dwordx2 v[4:5], v74, s[8:9] offset:1792
	v_mad_u64_u32 v[8:9], s[6:7], s4, v14, v[8:9]
	v_add_u32_e32 v9, s2, v9
	s_waitcnt vmcnt(0)
	;; [unrolled: 31-line block ×3, first 2 shown]
	v_mul_f32_e32 v10, v7, v5
	v_mul_f32_e32 v5, v6, v5
	v_fmac_f32_e32 v10, v6, v4
	v_fma_f32 v6, v4, v7, -v5
	v_cvt_f64_f32_e32 v[4:5], v10
	v_cvt_f64_f32_e32 v[6:7], v6
	v_mul_f64 v[4:5], v[4:5], s[0:1]
	v_mul_f64 v[6:7], v[6:7], s[0:1]
	v_cvt_f32_f64_e32 v4, v[4:5]
	v_cvt_f32_f64_e32 v5, v[6:7]
	global_store_dwordx2 v[8:9], v[4:5], off
	global_load_dwordx2 v[10:11], v74, s[8:9] offset:3136
	ds_read2_b64 v[4:7], v3 offset0:136 offset1:192
	v_mad_u64_u32 v[8:9], s[6:7], s4, v14, v[8:9]
	v_add_u32_e32 v9, s2, v9
	s_waitcnt vmcnt(0) lgkmcnt(0)
	v_mul_f32_e32 v3, v5, v11
	v_mul_f32_e32 v11, v4, v11
	v_fmac_f32_e32 v3, v4, v10
	v_fma_f32 v10, v10, v5, -v11
	v_cvt_f64_f32_e32 v[4:5], v3
	v_cvt_f64_f32_e32 v[10:11], v10
	v_mul_f64 v[4:5], v[4:5], s[0:1]
	v_mul_f64 v[10:11], v[10:11], s[0:1]
	v_cvt_f32_f64_e32 v4, v[4:5]
	v_cvt_f32_f64_e32 v5, v[10:11]
	global_store_dwordx2 v[8:9], v[4:5], off
	global_load_dwordx2 v[4:5], v74, s[8:9] offset:3584
	v_or_b32_e32 v3, 0x1c0, v16
	v_mad_u64_u32 v[10:11], s[6:7], s4, v3, 0
	v_mov_b32_e32 v12, v11
	v_mad_u64_u32 v[12:13], s[6:7], s5, v3, v[12:13]
	v_mov_b32_e32 v11, v12
	v_lshl_add_u64 v[10:11], v[10:11], 3, v[0:1]
	v_lshl_add_u64 v[12:13], s[8:9], 0, v[74:75]
	v_mad_u64_u32 v[8:9], s[6:7], s4, v15, v[8:9]
	v_add_co_u32_e32 v12, vcc, s11, v12
	v_add_u32_e32 v9, s3, v9
	s_nop 0
	v_addc_co_u32_e32 v13, vcc, 0, v13, vcc
	s_waitcnt vmcnt(0)
	v_mul_f32_e32 v3, v7, v5
	v_mul_f32_e32 v5, v6, v5
	v_fmac_f32_e32 v3, v6, v4
	v_fma_f32 v6, v4, v7, -v5
	v_cvt_f64_f32_e32 v[4:5], v3
	v_cvt_f64_f32_e32 v[6:7], v6
	v_mul_f64 v[4:5], v[4:5], s[0:1]
	v_mul_f64 v[6:7], v[6:7], s[0:1]
	v_cvt_f32_f64_e32 v4, v[4:5]
	v_cvt_f32_f64_e32 v5, v[6:7]
	global_store_dwordx2 v[10:11], v[4:5], off
	global_load_dwordx2 v[10:11], v74, s[8:9] offset:4032
	v_add_u32_e32 v3, 0xc00, v83
	ds_read2_b64 v[4:7], v3 offset0:120 offset1:176
	s_waitcnt vmcnt(0) lgkmcnt(0)
	v_mul_f32_e32 v3, v5, v11
	v_mul_f32_e32 v11, v4, v11
	v_fmac_f32_e32 v3, v4, v10
	v_fma_f32 v10, v10, v5, -v11
	v_cvt_f64_f32_e32 v[4:5], v3
	v_cvt_f64_f32_e32 v[10:11], v10
	v_mul_f64 v[4:5], v[4:5], s[0:1]
	v_mul_f64 v[10:11], v[10:11], s[0:1]
	v_cvt_f32_f64_e32 v4, v[4:5]
	v_cvt_f32_f64_e32 v5, v[10:11]
	global_store_dwordx2 v[8:9], v[4:5], off
	global_load_dwordx2 v[4:5], v[12:13], off offset:384
	v_mad_u64_u32 v[8:9], s[6:7], s4, v14, v[8:9]
	v_add_u32_e32 v9, s2, v9
	s_waitcnt vmcnt(0)
	v_mul_f32_e32 v3, v7, v5
	v_mul_f32_e32 v5, v6, v5
	v_fmac_f32_e32 v3, v6, v4
	v_fma_f32 v6, v4, v7, -v5
	v_cvt_f64_f32_e32 v[4:5], v3
	v_cvt_f64_f32_e32 v[6:7], v6
	v_mul_f64 v[4:5], v[4:5], s[0:1]
	v_mul_f64 v[6:7], v[6:7], s[0:1]
	v_cvt_f32_f64_e32 v4, v[4:5]
	v_cvt_f32_f64_e32 v5, v[6:7]
	global_store_dwordx2 v[8:9], v[4:5], off
	global_load_dwordx2 v[6:7], v[12:13], off offset:832
	ds_read2_b64 v[2:5], v2 offset0:104 offset1:160
	v_mad_u64_u32 v[8:9], s[6:7], s4, v14, v[8:9]
	v_add_u32_e32 v9, s2, v9
	s_waitcnt vmcnt(0) lgkmcnt(0)
	v_mul_f32_e32 v10, v3, v7
	v_mul_f32_e32 v7, v2, v7
	v_fmac_f32_e32 v10, v2, v6
	v_fma_f32 v6, v6, v3, -v7
	v_cvt_f64_f32_e32 v[2:3], v10
	v_cvt_f64_f32_e32 v[6:7], v6
	v_mul_f64 v[2:3], v[2:3], s[0:1]
	v_mul_f64 v[6:7], v[6:7], s[0:1]
	v_cvt_f32_f64_e32 v2, v[2:3]
	v_cvt_f32_f64_e32 v3, v[6:7]
	global_store_dwordx2 v[8:9], v[2:3], off
	global_load_dwordx2 v[2:3], v[12:13], off offset:1280
	v_mad_u64_u32 v[6:7], s[6:7], s4, v14, v[8:9]
	v_add_u32_e32 v7, s2, v7
	s_waitcnt vmcnt(0)
	v_mul_f32_e32 v8, v5, v3
	v_mul_f32_e32 v3, v4, v3
	v_fmac_f32_e32 v8, v4, v2
	v_fma_f32 v4, v2, v5, -v3
	v_cvt_f64_f32_e32 v[2:3], v8
	v_cvt_f64_f32_e32 v[4:5], v4
	v_mul_f64 v[2:3], v[2:3], s[0:1]
	v_mul_f64 v[4:5], v[4:5], s[0:1]
	v_cvt_f32_f64_e32 v2, v[2:3]
	v_cvt_f32_f64_e32 v3, v[4:5]
	global_store_dwordx2 v[6:7], v[2:3], off
	global_load_dwordx2 v[8:9], v[12:13], off offset:1728
	v_add_u32_e32 v2, 0x1400, v83
	ds_read2_b64 v[2:5], v2 offset0:88 offset1:144
	v_mad_u64_u32 v[6:7], s[6:7], s4, v14, v[6:7]
	v_add_u32_e32 v7, s2, v7
	s_waitcnt vmcnt(0) lgkmcnt(0)
	v_mul_f32_e32 v10, v3, v9
	v_mul_f32_e32 v9, v2, v9
	v_fmac_f32_e32 v10, v2, v8
	v_fma_f32 v8, v8, v3, -v9
	v_cvt_f64_f32_e32 v[2:3], v10
	v_cvt_f64_f32_e32 v[8:9], v8
	v_mul_f64 v[2:3], v[2:3], s[0:1]
	v_mul_f64 v[8:9], v[8:9], s[0:1]
	v_cvt_f32_f64_e32 v2, v[2:3]
	v_cvt_f32_f64_e32 v3, v[8:9]
	global_store_dwordx2 v[6:7], v[2:3], off
	global_load_dwordx2 v[2:3], v[12:13], off offset:2176
	v_mad_u64_u32 v[6:7], s[6:7], s4, v14, v[6:7]
	v_add_u32_e32 v7, s2, v7
	v_or_b32_e32 v10, 0x380, v16
	v_lshlrev_b32_e32 v11, 3, v10
	s_waitcnt vmcnt(0)
	v_mul_f32_e32 v8, v5, v3
	v_mul_f32_e32 v3, v4, v3
	v_fmac_f32_e32 v8, v4, v2
	v_fma_f32 v4, v2, v5, -v3
	v_cvt_f64_f32_e32 v[2:3], v8
	v_cvt_f64_f32_e32 v[4:5], v4
	v_mul_f64 v[2:3], v[2:3], s[0:1]
	v_mul_f64 v[4:5], v[4:5], s[0:1]
	v_cvt_f32_f64_e32 v2, v[2:3]
	v_cvt_f32_f64_e32 v3, v[4:5]
	global_store_dwordx2 v[6:7], v[2:3], off
	global_load_dwordx2 v[8:9], v[12:13], off offset:2624
	v_add_u32_e32 v2, 0x1800, v83
	ds_read2_b64 v[2:5], v2 offset0:72 offset1:128
	v_mad_u64_u32 v[6:7], s[6:7], s4, v14, v[6:7]
	v_add_u32_e32 v7, s2, v7
	s_waitcnt vmcnt(0) lgkmcnt(0)
	v_mul_f32_e32 v12, v3, v9
	v_mul_f32_e32 v9, v2, v9
	v_fmac_f32_e32 v12, v2, v8
	v_fma_f32 v8, v8, v3, -v9
	v_cvt_f64_f32_e32 v[2:3], v12
	v_cvt_f64_f32_e32 v[8:9], v8
	v_mul_f64 v[2:3], v[2:3], s[0:1]
	v_mul_f64 v[8:9], v[8:9], s[0:1]
	v_cvt_f32_f64_e32 v2, v[2:3]
	v_cvt_f32_f64_e32 v3, v[8:9]
	global_store_dwordx2 v[6:7], v[2:3], off
	global_load_dwordx2 v[2:3], v11, s[8:9]
	v_mad_u64_u32 v[6:7], s[2:3], s4, v10, 0
	v_mov_b32_e32 v8, v7
	v_mad_u64_u32 v[8:9], s[2:3], s5, v10, v[8:9]
	v_mov_b32_e32 v7, v8
	v_lshl_add_u64 v[0:1], v[6:7], 3, v[0:1]
	s_waitcnt vmcnt(0)
	v_mul_f32_e32 v8, v5, v3
	v_mul_f32_e32 v3, v4, v3
	v_fmac_f32_e32 v8, v4, v2
	v_fma_f32 v4, v2, v5, -v3
	v_cvt_f64_f32_e32 v[2:3], v8
	v_cvt_f64_f32_e32 v[4:5], v4
	v_mul_f64 v[2:3], v[2:3], s[0:1]
	v_mul_f64 v[4:5], v[4:5], s[0:1]
	v_cvt_f32_f64_e32 v2, v[2:3]
	v_cvt_f32_f64_e32 v3, v[4:5]
	global_store_dwordx2 v[0:1], v[2:3], off
.LBB0_23:
	s_endpgm
	.section	.rodata,"a",@progbits
	.p2align	6, 0x0
	.amdhsa_kernel bluestein_single_back_len952_dim1_sp_op_CI_CI
		.amdhsa_group_segment_fixed_size 22848
		.amdhsa_private_segment_fixed_size 0
		.amdhsa_kernarg_size 104
		.amdhsa_user_sgpr_count 2
		.amdhsa_user_sgpr_dispatch_ptr 0
		.amdhsa_user_sgpr_queue_ptr 0
		.amdhsa_user_sgpr_kernarg_segment_ptr 1
		.amdhsa_user_sgpr_dispatch_id 0
		.amdhsa_user_sgpr_kernarg_preload_length 0
		.amdhsa_user_sgpr_kernarg_preload_offset 0
		.amdhsa_user_sgpr_private_segment_size 0
		.amdhsa_uses_dynamic_stack 0
		.amdhsa_enable_private_segment 0
		.amdhsa_system_sgpr_workgroup_id_x 1
		.amdhsa_system_sgpr_workgroup_id_y 0
		.amdhsa_system_sgpr_workgroup_id_z 0
		.amdhsa_system_sgpr_workgroup_info 0
		.amdhsa_system_vgpr_workitem_id 0
		.amdhsa_next_free_vgpr 324
		.amdhsa_next_free_sgpr 72
		.amdhsa_accum_offset 256
		.amdhsa_reserve_vcc 1
		.amdhsa_float_round_mode_32 0
		.amdhsa_float_round_mode_16_64 0
		.amdhsa_float_denorm_mode_32 3
		.amdhsa_float_denorm_mode_16_64 3
		.amdhsa_dx10_clamp 1
		.amdhsa_ieee_mode 1
		.amdhsa_fp16_overflow 0
		.amdhsa_tg_split 0
		.amdhsa_exception_fp_ieee_invalid_op 0
		.amdhsa_exception_fp_denorm_src 0
		.amdhsa_exception_fp_ieee_div_zero 0
		.amdhsa_exception_fp_ieee_overflow 0
		.amdhsa_exception_fp_ieee_underflow 0
		.amdhsa_exception_fp_ieee_inexact 0
		.amdhsa_exception_int_div_zero 0
	.end_amdhsa_kernel
	.text
.Lfunc_end0:
	.size	bluestein_single_back_len952_dim1_sp_op_CI_CI, .Lfunc_end0-bluestein_single_back_len952_dim1_sp_op_CI_CI
                                        ; -- End function
	.section	.AMDGPU.csdata,"",@progbits
; Kernel info:
; codeLenInByte = 20840
; NumSgprs: 78
; NumVgprs: 256
; NumAgprs: 68
; TotalNumVgprs: 324
; ScratchSize: 0
; MemoryBound: 0
; FloatMode: 240
; IeeeMode: 1
; LDSByteSize: 22848 bytes/workgroup (compile time only)
; SGPRBlocks: 9
; VGPRBlocks: 40
; NumSGPRsForWavesPerEU: 78
; NumVGPRsForWavesPerEU: 324
; AccumOffset: 256
; Occupancy: 1
; WaveLimiterHint : 1
; COMPUTE_PGM_RSRC2:SCRATCH_EN: 0
; COMPUTE_PGM_RSRC2:USER_SGPR: 2
; COMPUTE_PGM_RSRC2:TRAP_HANDLER: 0
; COMPUTE_PGM_RSRC2:TGID_X_EN: 1
; COMPUTE_PGM_RSRC2:TGID_Y_EN: 0
; COMPUTE_PGM_RSRC2:TGID_Z_EN: 0
; COMPUTE_PGM_RSRC2:TIDIG_COMP_CNT: 0
; COMPUTE_PGM_RSRC3_GFX90A:ACCUM_OFFSET: 63
; COMPUTE_PGM_RSRC3_GFX90A:TG_SPLIT: 0
	.text
	.p2alignl 6, 3212836864
	.fill 256, 4, 3212836864
	.type	__hip_cuid_8b9fd7a318638d3d,@object ; @__hip_cuid_8b9fd7a318638d3d
	.section	.bss,"aw",@nobits
	.globl	__hip_cuid_8b9fd7a318638d3d
__hip_cuid_8b9fd7a318638d3d:
	.byte	0                               ; 0x0
	.size	__hip_cuid_8b9fd7a318638d3d, 1

	.ident	"AMD clang version 19.0.0git (https://github.com/RadeonOpenCompute/llvm-project roc-6.4.0 25133 c7fe45cf4b819c5991fe208aaa96edf142730f1d)"
	.section	".note.GNU-stack","",@progbits
	.addrsig
	.addrsig_sym __hip_cuid_8b9fd7a318638d3d
	.amdgpu_metadata
---
amdhsa.kernels:
  - .agpr_count:     68
    .args:
      - .actual_access:  read_only
        .address_space:  global
        .offset:         0
        .size:           8
        .value_kind:     global_buffer
      - .actual_access:  read_only
        .address_space:  global
        .offset:         8
        .size:           8
        .value_kind:     global_buffer
      - .actual_access:  read_only
        .address_space:  global
        .offset:         16
        .size:           8
        .value_kind:     global_buffer
      - .actual_access:  read_only
        .address_space:  global
        .offset:         24
        .size:           8
        .value_kind:     global_buffer
      - .actual_access:  read_only
        .address_space:  global
        .offset:         32
        .size:           8
        .value_kind:     global_buffer
      - .offset:         40
        .size:           8
        .value_kind:     by_value
      - .address_space:  global
        .offset:         48
        .size:           8
        .value_kind:     global_buffer
      - .address_space:  global
        .offset:         56
        .size:           8
        .value_kind:     global_buffer
      - .address_space:  global
        .offset:         64
        .size:           8
        .value_kind:     global_buffer
      - .address_space:  global
        .offset:         72
        .size:           8
        .value_kind:     global_buffer
      - .offset:         80
        .size:           4
        .value_kind:     by_value
      - .address_space:  global
        .offset:         88
        .size:           8
        .value_kind:     global_buffer
      - .address_space:  global
        .offset:         96
        .size:           8
        .value_kind:     global_buffer
    .group_segment_fixed_size: 22848
    .kernarg_segment_align: 8
    .kernarg_segment_size: 104
    .language:       OpenCL C
    .language_version:
      - 2
      - 0
    .max_flat_workgroup_size: 204
    .name:           bluestein_single_back_len952_dim1_sp_op_CI_CI
    .private_segment_fixed_size: 0
    .sgpr_count:     78
    .sgpr_spill_count: 0
    .symbol:         bluestein_single_back_len952_dim1_sp_op_CI_CI.kd
    .uniform_work_group_size: 1
    .uses_dynamic_stack: false
    .vgpr_count:     324
    .vgpr_spill_count: 0
    .wavefront_size: 64
amdhsa.target:   amdgcn-amd-amdhsa--gfx950
amdhsa.version:
  - 1
  - 2
...

	.end_amdgpu_metadata
